;; amdgpu-corpus repo=ROCm/rocFFT kind=compiled arch=gfx906 opt=O3
	.text
	.amdgcn_target "amdgcn-amd-amdhsa--gfx906"
	.amdhsa_code_object_version 6
	.protected	fft_rtc_back_len1820_factors_10_13_7_2_wgs_182_tpt_182_halfLds_dp_op_CI_CI_sbrr_dirReg ; -- Begin function fft_rtc_back_len1820_factors_10_13_7_2_wgs_182_tpt_182_halfLds_dp_op_CI_CI_sbrr_dirReg
	.globl	fft_rtc_back_len1820_factors_10_13_7_2_wgs_182_tpt_182_halfLds_dp_op_CI_CI_sbrr_dirReg
	.p2align	8
	.type	fft_rtc_back_len1820_factors_10_13_7_2_wgs_182_tpt_182_halfLds_dp_op_CI_CI_sbrr_dirReg,@function
fft_rtc_back_len1820_factors_10_13_7_2_wgs_182_tpt_182_halfLds_dp_op_CI_CI_sbrr_dirReg: ; @fft_rtc_back_len1820_factors_10_13_7_2_wgs_182_tpt_182_halfLds_dp_op_CI_CI_sbrr_dirReg
; %bb.0:
	s_load_dwordx4 s[16:19], s[4:5], 0x18
	s_load_dwordx4 s[12:15], s[4:5], 0x0
	;; [unrolled: 1-line block ×3, first 2 shown]
	v_mul_u32_u24_e32 v1, 0x169, v0
	v_add_u32_sdwa v6, s6, v1 dst_sel:DWORD dst_unused:UNUSED_PAD src0_sel:DWORD src1_sel:WORD_1
	s_waitcnt lgkmcnt(0)
	s_load_dwordx2 s[22:23], s[16:17], 0x0
	s_load_dwordx2 s[20:21], s[18:19], 0x0
	v_cmp_lt_u64_e64 s[0:1], s[14:15], 2
	v_mov_b32_e32 v1, 0
	v_mov_b32_e32 v4, 0
	;; [unrolled: 1-line block ×3, first 2 shown]
	s_and_b64 vcc, exec, s[0:1]
	v_mov_b32_e32 v5, 0
	s_cbranch_vccnz .LBB0_8
; %bb.1:
	s_load_dwordx2 s[0:1], s[4:5], 0x10
	s_add_u32 s2, s18, 8
	s_addc_u32 s3, s19, 0
	s_add_u32 s6, s16, 8
	v_mov_b32_e32 v4, 0
	s_addc_u32 s7, s17, 0
	v_mov_b32_e32 v5, 0
	s_waitcnt lgkmcnt(0)
	s_add_u32 s24, s0, 8
	v_mov_b32_e32 v65, v5
	s_addc_u32 s25, s1, 0
	s_mov_b64 s[26:27], 1
	v_mov_b32_e32 v64, v4
.LBB0_2:                                ; =>This Inner Loop Header: Depth=1
	s_load_dwordx2 s[28:29], s[24:25], 0x0
                                        ; implicit-def: $vgpr68_vgpr69
	s_waitcnt lgkmcnt(0)
	v_or_b32_e32 v2, s29, v7
	v_cmp_ne_u64_e32 vcc, 0, v[1:2]
	s_and_saveexec_b64 s[0:1], vcc
	s_xor_b64 s[30:31], exec, s[0:1]
	s_cbranch_execz .LBB0_4
; %bb.3:                                ;   in Loop: Header=BB0_2 Depth=1
	v_cvt_f32_u32_e32 v2, s28
	v_cvt_f32_u32_e32 v3, s29
	s_sub_u32 s0, 0, s28
	s_subb_u32 s1, 0, s29
	v_mac_f32_e32 v2, 0x4f800000, v3
	v_rcp_f32_e32 v2, v2
	v_mul_f32_e32 v2, 0x5f7ffffc, v2
	v_mul_f32_e32 v3, 0x2f800000, v2
	v_trunc_f32_e32 v3, v3
	v_mac_f32_e32 v2, 0xcf800000, v3
	v_cvt_u32_f32_e32 v3, v3
	v_cvt_u32_f32_e32 v2, v2
	v_mul_lo_u32 v8, s0, v3
	v_mul_hi_u32 v9, s0, v2
	v_mul_lo_u32 v11, s1, v2
	v_mul_lo_u32 v10, s0, v2
	v_add_u32_e32 v8, v9, v8
	v_add_u32_e32 v8, v8, v11
	v_mul_hi_u32 v9, v2, v10
	v_mul_lo_u32 v11, v2, v8
	v_mul_hi_u32 v13, v2, v8
	v_mul_hi_u32 v12, v3, v10
	v_mul_lo_u32 v10, v3, v10
	v_mul_hi_u32 v14, v3, v8
	v_add_co_u32_e32 v9, vcc, v9, v11
	v_addc_co_u32_e32 v11, vcc, 0, v13, vcc
	v_mul_lo_u32 v8, v3, v8
	v_add_co_u32_e32 v9, vcc, v9, v10
	v_addc_co_u32_e32 v9, vcc, v11, v12, vcc
	v_addc_co_u32_e32 v10, vcc, 0, v14, vcc
	v_add_co_u32_e32 v8, vcc, v9, v8
	v_addc_co_u32_e32 v9, vcc, 0, v10, vcc
	v_add_co_u32_e32 v2, vcc, v2, v8
	v_addc_co_u32_e32 v3, vcc, v3, v9, vcc
	v_mul_lo_u32 v8, s0, v3
	v_mul_hi_u32 v9, s0, v2
	v_mul_lo_u32 v10, s1, v2
	v_mul_lo_u32 v11, s0, v2
	v_add_u32_e32 v8, v9, v8
	v_add_u32_e32 v8, v8, v10
	v_mul_lo_u32 v12, v2, v8
	v_mul_hi_u32 v13, v2, v11
	v_mul_hi_u32 v14, v2, v8
	;; [unrolled: 1-line block ×3, first 2 shown]
	v_mul_lo_u32 v11, v3, v11
	v_mul_hi_u32 v9, v3, v8
	v_add_co_u32_e32 v12, vcc, v13, v12
	v_addc_co_u32_e32 v13, vcc, 0, v14, vcc
	v_mul_lo_u32 v8, v3, v8
	v_add_co_u32_e32 v11, vcc, v12, v11
	v_addc_co_u32_e32 v10, vcc, v13, v10, vcc
	v_addc_co_u32_e32 v9, vcc, 0, v9, vcc
	v_add_co_u32_e32 v8, vcc, v10, v8
	v_addc_co_u32_e32 v9, vcc, 0, v9, vcc
	v_add_co_u32_e32 v8, vcc, v2, v8
	v_addc_co_u32_e32 v9, vcc, v3, v9, vcc
	v_mad_u64_u32 v[2:3], s[0:1], v6, v9, 0
	v_mul_hi_u32 v10, v6, v8
	v_add_co_u32_e32 v10, vcc, v10, v2
	v_addc_co_u32_e32 v11, vcc, 0, v3, vcc
	v_mad_u64_u32 v[2:3], s[0:1], v7, v8, 0
	v_mad_u64_u32 v[8:9], s[0:1], v7, v9, 0
	v_add_co_u32_e32 v2, vcc, v10, v2
	v_addc_co_u32_e32 v2, vcc, v11, v3, vcc
	v_addc_co_u32_e32 v3, vcc, 0, v9, vcc
	v_add_co_u32_e32 v8, vcc, v2, v8
	v_addc_co_u32_e32 v9, vcc, 0, v3, vcc
	v_mul_lo_u32 v10, s29, v8
	v_mul_lo_u32 v11, s28, v9
	v_mad_u64_u32 v[2:3], s[0:1], s28, v8, 0
	v_add3_u32 v3, v3, v11, v10
	v_sub_u32_e32 v10, v7, v3
	v_mov_b32_e32 v11, s29
	v_sub_co_u32_e32 v2, vcc, v6, v2
	v_subb_co_u32_e64 v10, s[0:1], v10, v11, vcc
	v_subrev_co_u32_e64 v11, s[0:1], s28, v2
	v_subbrev_co_u32_e64 v10, s[0:1], 0, v10, s[0:1]
	v_cmp_le_u32_e64 s[0:1], s29, v10
	v_cndmask_b32_e64 v12, 0, -1, s[0:1]
	v_cmp_le_u32_e64 s[0:1], s28, v11
	v_cndmask_b32_e64 v11, 0, -1, s[0:1]
	v_cmp_eq_u32_e64 s[0:1], s29, v10
	v_cndmask_b32_e64 v10, v12, v11, s[0:1]
	v_add_co_u32_e64 v11, s[0:1], 2, v8
	v_addc_co_u32_e64 v12, s[0:1], 0, v9, s[0:1]
	v_add_co_u32_e64 v13, s[0:1], 1, v8
	v_addc_co_u32_e64 v14, s[0:1], 0, v9, s[0:1]
	v_subb_co_u32_e32 v3, vcc, v7, v3, vcc
	v_cmp_ne_u32_e64 s[0:1], 0, v10
	v_cmp_le_u32_e32 vcc, s29, v3
	v_cndmask_b32_e64 v10, v14, v12, s[0:1]
	v_cndmask_b32_e64 v12, 0, -1, vcc
	v_cmp_le_u32_e32 vcc, s28, v2
	v_cndmask_b32_e64 v2, 0, -1, vcc
	v_cmp_eq_u32_e32 vcc, s29, v3
	v_cndmask_b32_e32 v2, v12, v2, vcc
	v_cmp_ne_u32_e32 vcc, 0, v2
	v_cndmask_b32_e64 v2, v13, v11, s[0:1]
	v_cndmask_b32_e32 v69, v9, v10, vcc
	v_cndmask_b32_e32 v68, v8, v2, vcc
.LBB0_4:                                ;   in Loop: Header=BB0_2 Depth=1
	s_andn2_saveexec_b64 s[0:1], s[30:31]
	s_cbranch_execz .LBB0_6
; %bb.5:                                ;   in Loop: Header=BB0_2 Depth=1
	v_cvt_f32_u32_e32 v2, s28
	s_sub_i32 s30, 0, s28
	v_mov_b32_e32 v69, v1
	v_rcp_iflag_f32_e32 v2, v2
	v_mul_f32_e32 v2, 0x4f7ffffe, v2
	v_cvt_u32_f32_e32 v2, v2
	v_mul_lo_u32 v3, s30, v2
	v_mul_hi_u32 v3, v2, v3
	v_add_u32_e32 v2, v2, v3
	v_mul_hi_u32 v2, v6, v2
	v_mul_lo_u32 v3, v2, s28
	v_add_u32_e32 v8, 1, v2
	v_sub_u32_e32 v3, v6, v3
	v_subrev_u32_e32 v9, s28, v3
	v_cmp_le_u32_e32 vcc, s28, v3
	v_cndmask_b32_e32 v3, v3, v9, vcc
	v_cndmask_b32_e32 v2, v2, v8, vcc
	v_add_u32_e32 v8, 1, v2
	v_cmp_le_u32_e32 vcc, s28, v3
	v_cndmask_b32_e32 v68, v2, v8, vcc
.LBB0_6:                                ;   in Loop: Header=BB0_2 Depth=1
	s_or_b64 exec, exec, s[0:1]
	v_mul_lo_u32 v8, v69, s28
	v_mul_lo_u32 v9, v68, s29
	v_mad_u64_u32 v[2:3], s[0:1], v68, s28, 0
	s_load_dwordx2 s[0:1], s[6:7], 0x0
	s_load_dwordx2 s[28:29], s[2:3], 0x0
	v_add3_u32 v3, v3, v9, v8
	v_sub_co_u32_e32 v2, vcc, v6, v2
	v_subb_co_u32_e32 v3, vcc, v7, v3, vcc
	s_waitcnt lgkmcnt(0)
	v_mul_lo_u32 v6, s0, v3
	v_mul_lo_u32 v7, s1, v2
	v_mad_u64_u32 v[4:5], s[0:1], s0, v2, v[4:5]
	v_mul_lo_u32 v3, s28, v3
	v_mul_lo_u32 v8, s29, v2
	v_mad_u64_u32 v[64:65], s[0:1], s28, v2, v[64:65]
	s_add_u32 s26, s26, 1
	s_addc_u32 s27, s27, 0
	s_add_u32 s2, s2, 8
	v_add3_u32 v65, v8, v65, v3
	s_addc_u32 s3, s3, 0
	v_mov_b32_e32 v2, s14
	s_add_u32 s6, s6, 8
	v_mov_b32_e32 v3, s15
	s_addc_u32 s7, s7, 0
	v_cmp_ge_u64_e32 vcc, s[26:27], v[2:3]
	s_add_u32 s24, s24, 8
	v_add3_u32 v5, v7, v5, v6
	s_addc_u32 s25, s25, 0
	s_cbranch_vccnz .LBB0_9
; %bb.7:                                ;   in Loop: Header=BB0_2 Depth=1
	v_mov_b32_e32 v6, v68
	v_mov_b32_e32 v7, v69
	s_branch .LBB0_2
.LBB0_8:
	v_mov_b32_e32 v65, v5
	v_mov_b32_e32 v69, v7
	;; [unrolled: 1-line block ×4, first 2 shown]
.LBB0_9:
	s_load_dwordx2 s[0:1], s[4:5], 0x28
	s_lshl_b64 s[6:7], s[14:15], 3
	s_add_u32 s2, s18, s6
	s_addc_u32 s3, s19, s7
                                        ; implicit-def: $vgpr66
	s_waitcnt lgkmcnt(0)
	v_cmp_gt_u64_e32 vcc, s[0:1], v[68:69]
	v_cmp_le_u64_e64 s[0:1], s[0:1], v[68:69]
	s_and_saveexec_b64 s[4:5], s[0:1]
	s_xor_b64 s[0:1], exec, s[4:5]
; %bb.10:
	s_mov_b32 s4, 0x1681682
	v_mul_hi_u32 v1, v0, s4
                                        ; implicit-def: $vgpr4_vgpr5
	v_mul_u32_u24_e32 v1, 0xb6, v1
	v_sub_u32_e32 v66, v0, v1
                                        ; implicit-def: $vgpr0
; %bb.11:
	s_or_saveexec_b64 s[4:5], s[0:1]
                                        ; implicit-def: $vgpr2_vgpr3
                                        ; implicit-def: $vgpr30_vgpr31
                                        ; implicit-def: $vgpr34_vgpr35
                                        ; implicit-def: $vgpr38_vgpr39
                                        ; implicit-def: $vgpr42_vgpr43
                                        ; implicit-def: $vgpr46_vgpr47
                                        ; implicit-def: $vgpr54_vgpr55
                                        ; implicit-def: $vgpr62_vgpr63
                                        ; implicit-def: $vgpr50_vgpr51
                                        ; implicit-def: $vgpr58_vgpr59
	s_xor_b64 exec, exec, s[4:5]
	s_cbranch_execz .LBB0_13
; %bb.12:
	s_add_u32 s0, s16, s6
	s_mov_b32 s6, 0x1681682
	s_addc_u32 s1, s17, s7
	v_mul_hi_u32 v1, v0, s6
	s_load_dwordx2 s[0:1], s[0:1], 0x0
	v_mul_u32_u24_e32 v1, 0xb6, v1
	v_sub_u32_e32 v66, v0, v1
	s_waitcnt lgkmcnt(0)
	v_mul_lo_u32 v8, s1, v68
	v_mad_u64_u32 v[0:1], s[6:7], s22, v66, 0
	v_mul_lo_u32 v9, s0, v69
	v_mad_u64_u32 v[2:3], s[0:1], s0, v68, 0
	v_mad_u64_u32 v[6:7], s[0:1], s23, v66, v[1:2]
	v_add3_u32 v3, v3, v9, v8
	v_lshlrev_b64 v[2:3], 4, v[2:3]
	v_mov_b32_e32 v1, v6
	v_mov_b32_e32 v6, s9
	v_add_co_u32_e64 v7, s[0:1], s8, v2
	v_add_u32_e32 v8, 0xb6, v66
	v_addc_co_u32_e64 v6, s[0:1], v6, v3, s[0:1]
	v_lshlrev_b64 v[2:3], 4, v[4:5]
	v_mad_u64_u32 v[4:5], s[0:1], s22, v8, 0
	v_add_co_u32_e64 v24, s[0:1], v7, v2
	v_mov_b32_e32 v2, v5
	v_addc_co_u32_e64 v25, s[0:1], v6, v3, s[0:1]
	v_mad_u64_u32 v[2:3], s[0:1], s23, v8, v[2:3]
	v_add_u32_e32 v3, 0x16c, v66
	v_mad_u64_u32 v[6:7], s[0:1], s22, v3, 0
	v_lshlrev_b64 v[0:1], 4, v[0:1]
	v_mov_b32_e32 v5, v2
	v_add_co_u32_e64 v8, s[0:1], v24, v0
	v_mov_b32_e32 v2, v7
	v_addc_co_u32_e64 v9, s[0:1], v25, v1, s[0:1]
	v_lshlrev_b64 v[0:1], 4, v[4:5]
	v_mad_u64_u32 v[2:3], s[0:1], s23, v3, v[2:3]
	v_add_u32_e32 v5, 0x222, v66
	v_mad_u64_u32 v[3:4], s[0:1], s22, v5, 0
	v_add_co_u32_e64 v10, s[0:1], v24, v0
	v_mov_b32_e32 v7, v2
	v_mov_b32_e32 v2, v4
	v_addc_co_u32_e64 v11, s[0:1], v25, v1, s[0:1]
	v_lshlrev_b64 v[0:1], 4, v[6:7]
	v_mad_u64_u32 v[4:5], s[0:1], s23, v5, v[2:3]
	v_add_u32_e32 v7, 0x2d8, v66
	v_mad_u64_u32 v[5:6], s[0:1], s22, v7, 0
	v_add_co_u32_e64 v12, s[0:1], v24, v0
	v_mov_b32_e32 v2, v6
	v_addc_co_u32_e64 v13, s[0:1], v25, v1, s[0:1]
	v_lshlrev_b64 v[0:1], 4, v[3:4]
	v_mad_u64_u32 v[2:3], s[0:1], s23, v7, v[2:3]
	v_add_u32_e32 v7, 0x38e, v66
	v_mad_u64_u32 v[3:4], s[0:1], s22, v7, 0
	v_add_co_u32_e64 v14, s[0:1], v24, v0
	v_mov_b32_e32 v6, v2
	v_mov_b32_e32 v2, v4
	v_addc_co_u32_e64 v15, s[0:1], v25, v1, s[0:1]
	v_lshlrev_b64 v[0:1], 4, v[5:6]
	v_mad_u64_u32 v[4:5], s[0:1], s23, v7, v[2:3]
	v_add_u32_e32 v7, 0x444, v66
	v_mad_u64_u32 v[5:6], s[0:1], s22, v7, 0
	;; [unrolled: 15-line block ×3, first 2 shown]
	v_add_co_u32_e64 v20, s[0:1], v24, v0
	v_mov_b32_e32 v2, v6
	v_addc_co_u32_e64 v21, s[0:1], v25, v1, s[0:1]
	v_lshlrev_b64 v[0:1], 4, v[3:4]
	v_mad_u64_u32 v[2:3], s[0:1], s23, v7, v[2:3]
	v_add_u32_e32 v7, 0x666, v66
	v_mad_u64_u32 v[3:4], s[0:1], s22, v7, 0
	v_add_co_u32_e64 v22, s[0:1], v24, v0
	v_mov_b32_e32 v6, v2
	v_mov_b32_e32 v2, v4
	v_addc_co_u32_e64 v23, s[0:1], v25, v1, s[0:1]
	v_lshlrev_b64 v[0:1], 4, v[5:6]
	v_mad_u64_u32 v[4:5], s[0:1], s23, v7, v[2:3]
	v_add_co_u32_e64 v5, s[0:1], v24, v0
	v_addc_co_u32_e64 v6, s[0:1], v25, v1, s[0:1]
	v_lshlrev_b64 v[0:1], 4, v[3:4]
	v_add_co_u32_e64 v24, s[0:1], v24, v0
	v_addc_co_u32_e64 v25, s[0:1], v25, v1, s[0:1]
	global_load_dwordx4 v[56:59], v[8:9], off
	global_load_dwordx4 v[48:51], v[10:11], off
	global_load_dwordx4 v[60:63], v[12:13], off
	global_load_dwordx4 v[52:55], v[14:15], off
	global_load_dwordx4 v[44:47], v[16:17], off
	global_load_dwordx4 v[40:43], v[18:19], off
	global_load_dwordx4 v[36:39], v[20:21], off
	global_load_dwordx4 v[32:35], v[22:23], off
	global_load_dwordx4 v[28:31], v[5:6], off
	global_load_dwordx4 v[0:3], v[24:25], off
.LBB0_13:
	s_or_b64 exec, exec, s[4:5]
	s_waitcnt vmcnt(3)
	v_add_f64 v[4:5], v[36:37], v[44:45]
	s_waitcnt vmcnt(1)
	v_add_f64 v[6:7], v[28:29], v[60:61]
	v_add_f64 v[8:9], v[60:61], -v[44:45]
	v_add_f64 v[10:11], v[28:29], -v[36:37]
	v_add_f64 v[12:13], v[44:45], -v[60:61]
	v_add_f64 v[14:15], v[36:37], -v[28:29]
	v_add_f64 v[16:17], v[62:63], -v[30:31]
	v_add_f64 v[18:19], v[46:47], -v[38:39]
	v_fma_f64 v[4:5], v[4:5], -0.5, v[56:57]
	v_fma_f64 v[6:7], v[6:7], -0.5, v[56:57]
	s_mov_b32 s14, 0x134454ff
	s_mov_b32 s15, 0xbfee6f0e
	;; [unrolled: 1-line block ×4, first 2 shown]
	v_add_f64 v[8:9], v[10:11], v[8:9]
	v_add_f64 v[10:11], v[14:15], v[12:13]
	v_fma_f64 v[12:13], v[16:17], s[14:15], v[4:5]
	v_fma_f64 v[4:5], v[16:17], s[6:7], v[4:5]
	;; [unrolled: 1-line block ×4, first 2 shown]
	v_add_f64 v[20:21], v[32:33], v[40:41]
	s_mov_b32 s16, 0x4755a5e
	s_mov_b32 s17, 0xbfe2cf23
	;; [unrolled: 1-line block ×4, first 2 shown]
	v_fma_f64 v[12:13], v[18:19], s[16:17], v[12:13]
	v_fma_f64 v[4:5], v[18:19], s[8:9], v[4:5]
	;; [unrolled: 1-line block ×4, first 2 shown]
	v_fma_f64 v[16:17], v[20:21], -0.5, v[48:49]
	s_waitcnt vmcnt(0)
	v_add_f64 v[18:19], v[54:55], -v[2:3]
	v_add_f64 v[20:21], v[52:53], -v[40:41]
	v_add_f64 v[22:23], v[0:1], v[52:53]
	v_add_f64 v[24:25], v[0:1], -v[32:33]
	s_mov_b32 s18, 0x372fe950
	s_mov_b32 s19, 0x3fd3c6ef
	v_fma_f64 v[12:13], v[8:9], s[18:19], v[12:13]
	v_fma_f64 v[26:27], v[8:9], s[18:19], v[4:5]
	;; [unrolled: 1-line block ×5, first 2 shown]
	v_add_f64 v[6:7], v[42:43], -v[34:35]
	v_fma_f64 v[14:15], v[22:23], -0.5, v[48:49]
	v_add_f64 v[20:21], v[24:25], v[20:21]
	v_fma_f64 v[16:17], v[18:19], s[6:7], v[16:17]
	v_add_f64 v[22:23], v[34:35], v[42:43]
	v_add_f64 v[24:25], v[40:41], -v[52:53]
	v_add_f64 v[70:71], v[32:33], -v[0:1]
	v_add_f64 v[72:73], v[2:3], v[54:55]
	v_fma_f64 v[4:5], v[6:7], s[16:17], v[4:5]
	v_fma_f64 v[74:75], v[6:7], s[6:7], v[14:15]
	;; [unrolled: 1-line block ×4, first 2 shown]
	v_fma_f64 v[16:17], v[22:23], -0.5, v[50:51]
	v_add_f64 v[22:23], v[52:53], -v[0:1]
	v_add_f64 v[24:25], v[70:71], v[24:25]
	v_fma_f64 v[70:71], v[72:73], -0.5, v[50:51]
	v_add_f64 v[72:73], v[40:41], -v[32:33]
	v_fma_f64 v[74:75], v[18:19], s[16:17], v[74:75]
	v_fma_f64 v[14:15], v[18:19], s[8:9], v[14:15]
	v_add_f64 v[18:19], v[54:55], -v[42:43]
	v_add_f64 v[76:77], v[2:3], -v[34:35]
	v_fma_f64 v[78:79], v[22:23], s[6:7], v[16:17]
	v_add_f64 v[80:81], v[42:43], -v[54:55]
	v_add_f64 v[82:83], v[34:35], -v[2:3]
	v_fma_f64 v[84:85], v[72:73], s[14:15], v[70:71]
	v_add_f64 v[56:57], v[60:61], v[56:57]
	v_add_f64 v[48:49], v[52:53], v[48:49]
	v_fma_f64 v[52:53], v[72:73], s[6:7], v[70:71]
	v_fma_f64 v[16:17], v[22:23], s[14:15], v[16:17]
	v_add_f64 v[18:19], v[76:77], v[18:19]
	v_fma_f64 v[70:71], v[72:73], s[8:9], v[78:79]
	v_add_f64 v[76:77], v[82:83], v[80:81]
	;; [unrolled: 2-line block ×3, first 2 shown]
	v_add_f64 v[80:81], v[40:41], v[48:49]
	v_fma_f64 v[22:23], v[22:23], s[16:17], v[52:53]
	v_fma_f64 v[16:17], v[72:73], s[16:17], v[16:17]
	;; [unrolled: 1-line block ×6, first 2 shown]
	v_add_f64 v[4:5], v[36:37], v[56:57]
	v_add_f64 v[6:7], v[32:33], v[80:81]
	v_fma_f64 v[70:71], v[76:77], s[18:19], v[22:23]
	v_fma_f64 v[56:57], v[18:19], s[18:19], v[16:17]
	;; [unrolled: 1-line block ×4, first 2 shown]
	v_mul_f64 v[14:15], v[48:49], s[16:17]
	v_mul_f64 v[16:17], v[52:53], s[14:15]
	v_add_f64 v[20:21], v[28:29], v[4:5]
	v_add_f64 v[0:1], v[0:1], v[6:7]
	v_mul_f64 v[4:5], v[70:71], s[14:15]
	v_mul_f64 v[6:7], v[56:57], s[16:17]
	s_mov_b32 s22, 0x9b97f4a8
	s_mov_b32 s1, 0xbfd3c6ef
	;; [unrolled: 1-line block ×4, first 2 shown]
	v_fma_f64 v[14:15], v[72:73], s[22:23], v[14:15]
	v_fma_f64 v[16:17], v[74:75], s[18:19], v[16:17]
	v_fma_f64 v[24:25], v[32:33], s[0:1], v[4:5]
	s_mov_b32 s1, 0xbfe9e377
	s_mov_b32 s0, s22
	v_fma_f64 v[76:77], v[40:41], s[0:1], v[6:7]
	v_add_f64 v[4:5], v[0:1], v[20:21]
	v_add_f64 v[22:23], v[20:21], -v[0:1]
	v_add_f64 v[6:7], v[12:13], v[14:15]
	v_add_f64 v[12:13], v[12:13], -v[14:15]
	v_add_f64 v[14:15], v[8:9], -v[16:17]
	v_add_f64 v[16:17], v[8:9], v[16:17]
	v_add_f64 v[18:19], v[10:11], v[24:25]
	;; [unrolled: 1-line block ×3, first 2 shown]
	v_add_f64 v[8:9], v[10:11], -v[24:25]
	v_add_f64 v[10:11], v[26:27], -v[76:77]
	s_load_dwordx2 s[4:5], s[2:3], 0x0
	v_mul_u32_u24_e32 v0, 10, v66
	s_movk_i32 s0, 0x8c
	v_lshl_add_u32 v67, v0, 3, 0
	v_cmp_gt_u32_e64 s[0:1], s0, v66
	ds_write_b128 v67, v[4:7]
	ds_write_b128 v67, v[16:19] offset:16
	ds_write_b128 v67, v[20:23] offset:32
	;; [unrolled: 1-line block ×4, first 2 shown]
	s_waitcnt lgkmcnt(0)
	s_barrier
	s_waitcnt lgkmcnt(0)
                                        ; implicit-def: $vgpr76_vgpr77
                                        ; implicit-def: $vgpr26_vgpr27
	s_and_saveexec_b64 s[2:3], s[0:1]
	s_cbranch_execz .LBB0_15
; %bb.14:
	s_movk_i32 s24, 0xffb8
	v_mad_i32_i24 v0, v66, s24, v67
	v_add_u32_e32 v1, 0x800, v0
	ds_read2_b64 v[16:19], v1 offset0:24 offset1:164
	v_add_u32_e32 v1, 0x1000, v0
	ds_read2_b64 v[20:23], v1 offset0:48 offset1:188
	;; [unrolled: 2-line block ×4, first 2 shown]
	v_add_u32_e32 v1, 0x2a00, v0
	ds_read2_b64 v[4:7], v0 offset1:140
	ds_read2_b64 v[24:27], v1 offset0:56 offset1:196
	ds_read_b64 v[76:77], v0 offset:13440
.LBB0_15:
	s_or_b64 exec, exec, s[2:3]
	v_add_f64 v[0:1], v[38:39], v[46:47]
	v_add_f64 v[78:79], v[30:31], v[62:63]
	;; [unrolled: 1-line block ×3, first 2 shown]
	v_add_f64 v[28:29], v[60:61], -v[28:29]
	v_add_f64 v[36:37], v[44:45], -v[36:37]
	v_add_f64 v[50:51], v[54:55], v[50:51]
	v_add_f64 v[44:45], v[62:63], -v[46:47]
	v_add_f64 v[60:61], v[30:31], -v[38:39]
	v_fma_f64 v[0:1], v[0:1], -0.5, v[58:59]
	v_fma_f64 v[58:59], v[78:79], -0.5, v[58:59]
	v_add_f64 v[62:63], v[46:47], -v[62:63]
	v_add_f64 v[78:79], v[38:39], -v[30:31]
	v_mul_f64 v[54:55], v[72:73], s[8:9]
	v_mul_f64 v[72:73], v[74:75], s[6:7]
	v_add_f64 v[46:47], v[46:47], v[80:81]
	v_add_f64 v[42:43], v[42:43], v[50:51]
	v_fma_f64 v[74:75], v[28:29], s[6:7], v[0:1]
	v_fma_f64 v[0:1], v[28:29], s[14:15], v[0:1]
	;; [unrolled: 1-line block ×4, first 2 shown]
	v_add_f64 v[44:45], v[60:61], v[44:45]
	v_add_f64 v[50:51], v[78:79], v[62:63]
	v_add_f64 v[38:39], v[38:39], v[46:47]
	v_add_f64 v[34:35], v[34:35], v[42:43]
	v_fma_f64 v[46:47], v[36:37], s[8:9], v[74:75]
	v_fma_f64 v[0:1], v[36:37], s[16:17], v[0:1]
	;; [unrolled: 1-line block ×4, first 2 shown]
	v_mul_f64 v[42:43], v[70:71], s[18:19]
	v_mul_f64 v[56:57], v[56:57], s[22:23]
	v_add_f64 v[38:39], v[30:31], v[38:39]
	v_add_f64 v[34:35], v[2:3], v[34:35]
	v_fma_f64 v[46:47], v[44:45], s[18:19], v[46:47]
	v_fma_f64 v[44:45], v[44:45], s[18:19], v[0:1]
	;; [unrolled: 1-line block ×6, first 2 shown]
	v_fma_f64 v[54:55], v[32:33], s[6:7], -v[42:43]
	v_fma_f64 v[56:57], v[40:41], s[8:9], -v[56:57]
	v_add_f64 v[0:1], v[34:35], v[38:39]
	v_add_f64 v[34:35], v[38:39], -v[34:35]
	s_waitcnt lgkmcnt(0)
	s_barrier
	v_add_f64 v[2:3], v[46:47], v[48:49]
	v_add_f64 v[28:29], v[36:37], v[52:53]
	;; [unrolled: 1-line block ×4, first 2 shown]
	v_add_f64 v[40:41], v[46:47], -v[48:49]
	v_add_f64 v[42:43], v[36:37], -v[52:53]
	;; [unrolled: 1-line block ×4, first 2 shown]
	ds_write_b128 v67, v[0:3]
	ds_write_b128 v67, v[28:31] offset:16
	ds_write_b128 v67, v[32:35] offset:32
	;; [unrolled: 1-line block ×4, first 2 shown]
	s_waitcnt lgkmcnt(0)
	s_barrier
	s_waitcnt lgkmcnt(0)
                                        ; implicit-def: $vgpr58_vgpr59
                                        ; implicit-def: $vgpr46_vgpr47
	s_and_saveexec_b64 s[2:3], s[0:1]
	s_cbranch_execz .LBB0_17
; %bb.16:
	s_movk_i32 s6, 0xffb8
	v_mad_i32_i24 v48, v66, s6, v67
	v_add_u32_e32 v36, 0x1800, v48
	v_add_u32_e32 v28, 0x800, v48
	;; [unrolled: 1-line block ×3, first 2 shown]
	ds_read2_b64 v[40:43], v36 offset0:72 offset1:212
	v_add_u32_e32 v36, 0x2000, v48
	v_add_u32_e32 v44, 0x2a00, v48
	ds_read2_b64 v[0:3], v48 offset1:140
	ds_read2_b64 v[28:31], v28 offset0:24 offset1:164
	ds_read2_b64 v[32:35], v32 offset0:48 offset1:188
	;; [unrolled: 1-line block ×4, first 2 shown]
	ds_read_b64 v[58:59], v48 offset:13440
.LBB0_17:
	s_or_b64 exec, exec, s[2:3]
	s_movk_i32 s2, 0xcd
	v_mul_lo_u16_sdwa v48, v66, s2 dst_sel:DWORD dst_unused:UNUSED_PAD src0_sel:BYTE_0 src1_sel:DWORD
	v_lshrrev_b16_e32 v67, 11, v48
	v_mul_lo_u16_e32 v48, 10, v67
	v_sub_u16_e32 v157, v66, v48
	v_mov_b32_e32 v48, 12
	v_mul_u32_u24_sdwa v48, v157, v48 dst_sel:DWORD dst_unused:UNUSED_PAD src0_sel:BYTE_0 src1_sel:DWORD
	v_lshlrev_b32_e32 v56, 4, v48
	global_load_dwordx4 v[48:51], v56, s[12:13] offset:16
	global_load_dwordx4 v[52:55], v56, s[12:13] offset:32
	;; [unrolled: 1-line block ×9, first 2 shown]
	global_load_dwordx4 v[104:107], v56, s[12:13]
	global_load_dwordx4 v[108:111], v56, s[12:13] offset:160
	global_load_dwordx4 v[112:115], v56, s[12:13] offset:144
	s_mov_b32 s34, 0x42a4c3d2
	s_mov_b32 s36, 0x66966769
	;; [unrolled: 1-line block ×30, first 2 shown]
	s_waitcnt vmcnt(0) lgkmcnt(0)
	s_barrier
	v_mul_f64 v[56:57], v[28:29], v[50:51]
	v_mul_f64 v[50:51], v[16:17], v[50:51]
	;; [unrolled: 1-line block ×13, first 2 shown]
	v_fma_f64 v[78:79], v[16:17], v[48:49], v[56:57]
	v_mul_f64 v[118:119], v[40:41], v[86:87]
	v_mul_f64 v[86:87], v[12:13], v[86:87]
	v_fma_f64 v[16:17], v[58:59], v[100:101], -v[126:127]
	v_fma_f64 v[58:59], v[2:3], v[104:105], -v[128:129]
	v_mul_f64 v[120:121], v[42:43], v[90:91]
	v_mul_f64 v[90:91], v[14:15], v[90:91]
	;; [unrolled: 1-line block ×5, first 2 shown]
	v_fma_f64 v[56:57], v[28:29], v[48:49], -v[50:51]
	v_fma_f64 v[74:75], v[18:19], v[52:53], v[70:71]
	v_fma_f64 v[70:71], v[22:23], v[80:81], v[116:117]
	v_fma_f64 v[50:51], v[34:35], v[80:81], -v[82:83]
	v_fma_f64 v[18:19], v[46:47], v[108:109], -v[130:131]
	v_fma_f64 v[80:81], v[6:7], v[104:105], v[106:107]
	v_fma_f64 v[82:83], v[76:77], v[100:101], v[102:103]
	v_add_f64 v[2:3], v[58:59], -v[16:17]
	v_mul_f64 v[124:125], v[38:39], v[98:99]
	v_mul_f64 v[98:99], v[10:11], v[98:99]
	;; [unrolled: 1-line block ×4, first 2 shown]
	v_fma_f64 v[54:55], v[30:31], v[52:53], -v[54:55]
	v_fma_f64 v[72:73], v[20:21], v[60:61], v[72:73]
	v_fma_f64 v[52:53], v[32:33], v[60:61], -v[62:63]
	v_fma_f64 v[60:61], v[12:13], v[84:85], v[118:119]
	v_fma_f64 v[48:49], v[40:41], v[84:85], -v[86:87]
	v_fma_f64 v[30:31], v[42:43], v[88:89], -v[90:91]
	v_fma_f64 v[42:43], v[8:9], v[92:93], v[122:123]
	v_fma_f64 v[28:29], v[36:37], v[92:93], -v[94:95]
	v_fma_f64 v[76:77], v[26:27], v[108:109], v[110:111]
	v_add_f64 v[6:7], v[56:57], -v[18:19]
	v_add_f64 v[122:123], v[80:81], v[82:83]
	v_mul_f64 v[34:35], v[2:3], s[22:23]
	v_mul_f64 v[36:37], v[2:3], s[34:35]
	;; [unrolled: 1-line block ×3, first 2 shown]
	v_fma_f64 v[62:63], v[14:15], v[88:89], v[120:121]
	v_fma_f64 v[20:21], v[44:45], v[112:113], -v[114:115]
	v_fma_f64 v[46:47], v[24:25], v[112:113], v[132:133]
	v_fma_f64 v[44:45], v[10:11], v[96:97], v[124:125]
	v_fma_f64 v[24:25], v[38:39], v[96:97], -v[98:99]
	v_add_f64 v[120:121], v[78:79], v[76:77]
	v_mul_f64 v[22:23], v[6:7], s[34:35]
	v_mul_f64 v[26:27], v[6:7], s[24:25]
	;; [unrolled: 1-line block ×6, first 2 shown]
	v_fma_f64 v[2:3], v[122:123], s[6:7], -v[34:35]
	v_fma_f64 v[10:11], v[122:123], s[2:3], -v[36:37]
	v_fma_f64 v[12:13], v[122:123], s[14:15], -v[84:85]
	s_mov_b32 s23, 0x3fddbe06
	v_add_f64 v[8:9], v[54:55], -v[20:21]
	v_mul_f64 v[86:87], v[6:7], s[38:39]
	v_mul_f64 v[102:103], v[6:7], s[30:31]
	;; [unrolled: 1-line block ×3, first 2 shown]
	v_fma_f64 v[6:7], v[120:121], s[2:3], -v[22:23]
	v_fma_f64 v[14:15], v[122:123], s[8:9], -v[40:41]
	;; [unrolled: 1-line block ×6, first 2 shown]
	v_add_f64 v[2:3], v[4:5], v[2:3]
	v_add_f64 v[10:11], v[4:5], v[10:11]
	v_add_f64 v[12:13], v[4:5], v[12:13]
	v_add_f64 v[126:127], v[74:75], v[46:47]
	v_mul_f64 v[32:33], v[8:9], s[36:37]
	v_fma_f64 v[98:99], v[120:121], s[16:17], -v[86:87]
	v_add_f64 v[14:15], v[4:5], v[14:15]
	v_add_f64 v[106:107], v[4:5], v[94:95]
	;; [unrolled: 1-line block ×6, first 2 shown]
	v_fma_f64 v[12:13], v[120:121], s[6:7], -v[92:93]
	v_mul_f64 v[90:91], v[8:9], s[40:41]
	v_mul_f64 v[94:95], v[8:9], s[22:23]
	v_add_f64 v[114:115], v[52:53], -v[24:25]
	v_fma_f64 v[100:101], v[120:121], s[14:15], -v[102:103]
	v_mul_f64 v[88:89], v[8:9], s[26:27]
	v_add_f64 v[14:15], v[98:99], v[14:15]
	v_fma_f64 v[110:111], v[126:127], s[14:15], -v[32:33]
	v_add_f64 v[12:13], v[12:13], v[96:97]
	v_fma_f64 v[112:113], v[126:127], s[8:9], -v[90:91]
	v_fma_f64 v[124:125], v[126:127], s[6:7], -v[94:95]
	v_add_f64 v[148:149], v[72:73], v[44:45]
	v_mul_f64 v[96:97], v[114:115], s[24:25]
	v_add_f64 v[106:107], v[100:101], v[106:107]
	v_fma_f64 v[100:101], v[126:127], s[18:19], -v[88:89]
	v_mul_f64 v[118:119], v[8:9], s[34:35]
	v_mul_f64 v[116:117], v[8:9], s[28:29]
	;; [unrolled: 1-line block ×3, first 2 shown]
	v_add_f64 v[2:3], v[110:111], v[2:3]
	v_add_f64 v[8:9], v[112:113], v[10:11]
	;; [unrolled: 1-line block ×3, first 2 shown]
	v_fma_f64 v[124:125], v[148:149], s[8:9], -v[96:97]
	v_mul_f64 v[112:113], v[114:115], s[36:37]
	s_mov_b32 s37, 0x3fcea1e5
	s_mov_b32 s36, s26
	v_add_f64 v[6:7], v[100:101], v[6:7]
	v_fma_f64 v[14:15], v[126:127], s[2:3], -v[118:119]
	v_fma_f64 v[110:111], v[126:127], s[16:17], -v[116:117]
	v_fma_f64 v[128:129], v[148:149], s[16:17], -v[98:99]
	v_mul_f64 v[100:101], v[114:115], s[22:23]
	v_mul_f64 v[130:131], v[114:115], s[36:37]
	v_add_f64 v[2:3], v[124:125], v[2:3]
	v_add_f64 v[124:125], v[50:51], -v[28:29]
	s_mov_b32 s39, 0x3fea55e2
	s_mov_b32 s38, s34
	v_add_f64 v[14:15], v[14:15], v[106:107]
	v_add_f64 v[12:13], v[110:111], v[12:13]
	v_add_f64 v[6:7], v[128:129], v[6:7]
	v_fma_f64 v[128:129], v[148:149], s[6:7], -v[100:101]
	v_fma_f64 v[132:133], v[148:149], s[14:15], -v[112:113]
	;; [unrolled: 1-line block ×3, first 2 shown]
	v_mul_f64 v[136:137], v[114:115], s[38:39]
	v_add_f64 v[138:139], v[70:71], v[42:43]
	v_mul_f64 v[106:107], v[124:125], s[28:29]
	v_mul_f64 v[110:111], v[124:125], s[30:31]
	;; [unrolled: 1-line block ×4, first 2 shown]
	v_add_f64 v[8:9], v[128:129], v[8:9]
	v_add_f64 v[10:11], v[132:133], v[10:11]
	v_fma_f64 v[128:129], v[148:149], s[2:3], -v[136:137]
	v_add_f64 v[14:15], v[140:141], v[14:15]
	v_fma_f64 v[132:133], v[138:139], s[16:17], -v[106:107]
	v_fma_f64 v[144:145], v[138:139], s[14:15], -v[110:111]
	;; [unrolled: 1-line block ×4, first 2 shown]
	v_mul_f64 v[142:143], v[124:125], s[22:23]
	v_mul_f64 v[140:141], v[124:125], s[24:25]
	v_add_f64 v[152:153], v[48:49], -v[30:31]
	v_add_f64 v[12:13], v[128:129], v[12:13]
	v_add_f64 v[2:3], v[132:133], v[2:3]
	;; [unrolled: 1-line block ×5, first 2 shown]
	v_fma_f64 v[6:7], v[138:139], s[6:7], -v[142:143]
	v_fma_f64 v[8:9], v[138:139], s[8:9], -v[140:141]
	v_add_f64 v[144:145], v[60:61], v[62:63]
	v_mul_f64 v[124:125], v[152:153], s[26:27]
	v_mul_f64 v[128:129], v[152:153], s[22:23]
	;; [unrolled: 1-line block ×6, first 2 shown]
	v_add_f64 v[14:15], v[6:7], v[14:15]
	v_add_f64 v[162:163], v[8:9], v[12:13]
	v_fma_f64 v[6:7], v[144:145], s[18:19], -v[124:125]
	v_fma_f64 v[8:9], v[144:145], s[6:7], -v[128:129]
	;; [unrolled: 1-line block ×6, first 2 shown]
	v_add_f64 v[6:7], v[6:7], v[2:3]
	v_add_f64 v[8:9], v[8:9], v[154:155]
	;; [unrolled: 1-line block ×6, first 2 shown]
	s_and_saveexec_b64 s[22:23], s[0:1]
	s_cbranch_execz .LBB0_19
; %bb.18:
	v_mul_f64 v[164:165], v[122:123], s[16:17]
	v_mul_f64 v[154:155], v[122:123], s[6:7]
	;; [unrolled: 1-line block ×8, first 2 shown]
	v_add_f64 v[108:109], v[164:165], v[108:109]
	v_mul_f64 v[168:169], v[120:121], s[8:9]
	v_mul_f64 v[170:171], v[120:121], s[18:19]
	;; [unrolled: 1-line block ×5, first 2 shown]
	v_add_f64 v[104:105], v[122:123], v[104:105]
	v_add_f64 v[102:103], v[174:175], v[102:103]
	;; [unrolled: 1-line block ×4, first 2 shown]
	v_mul_f64 v[192:193], v[148:149], s[18:19]
	v_add_f64 v[34:35], v[154:155], v[34:35]
	v_add_f64 v[92:93], v[120:121], v[92:93]
	;; [unrolled: 1-line block ×9, first 2 shown]
	v_mul_f64 v[176:177], v[126:127], s[14:15]
	v_add_f64 v[22:23], v[166:167], v[22:23]
	v_add_f64 v[92:93], v[92:93], v[104:105]
	;; [unrolled: 1-line block ×6, first 2 shown]
	v_mul_f64 v[178:179], v[126:127], s[18:19]
	v_mul_f64 v[180:181], v[126:127], s[8:9]
	v_add_f64 v[38:39], v[170:171], v[38:39]
	v_add_f64 v[84:85], v[4:5], v[84:85]
	;; [unrolled: 1-line block ×6, first 2 shown]
	v_mul_f64 v[182:183], v[126:127], s[6:7]
	v_mul_f64 v[126:127], v[126:127], s[16:17]
	v_add_f64 v[86:87], v[172:173], v[86:87]
	v_add_f64 v[4:5], v[4:5], v[40:41]
	v_mul_f64 v[186:187], v[148:149], s[8:9]
	v_add_f64 v[32:33], v[176:177], v[32:33]
	v_add_f64 v[104:105], v[104:105], v[70:71]
	;; [unrolled: 1-line block ×3, first 2 shown]
	v_mul_f64 v[188:189], v[148:149], s[16:17]
	v_mul_f64 v[164:165], v[148:149], s[6:7]
	v_add_f64 v[40:41], v[180:181], v[90:91]
	v_add_f64 v[38:39], v[38:39], v[84:85]
	v_add_f64 v[84:85], v[178:179], v[88:89]
	v_add_f64 v[26:27], v[26:27], v[36:37]
	v_add_f64 v[104:105], v[104:105], v[60:61]
	v_mul_f64 v[190:191], v[148:149], s[14:15]
	v_mul_f64 v[120:121], v[138:139], s[6:7]
	v_add_f64 v[116:117], v[126:127], v[116:117]
	v_add_f64 v[94:95], v[182:183], v[94:95]
	v_add_f64 v[4:5], v[86:87], v[4:5]
	v_mul_f64 v[148:149], v[148:149], s[2:3]
	v_mul_f64 v[194:195], v[138:139], s[16:17]
	v_add_f64 v[104:105], v[104:105], v[62:63]
	v_add_f64 v[86:87], v[186:187], v[96:97]
	v_add_f64 v[22:23], v[32:33], v[22:23]
	;; [unrolled: 5-line block ×3, first 2 shown]
	v_add_f64 v[34:35], v[104:105], v[42:43]
	v_add_f64 v[26:27], v[84:85], v[26:27]
	v_mul_f64 v[198:199], v[138:139], s[18:19]
	v_add_f64 v[92:93], v[116:117], v[92:93]
	v_add_f64 v[116:117], v[120:121], v[142:143]
	v_add_f64 v[112:113], v[190:191], v[112:113]
	v_add_f64 v[4:5], v[94:95], v[4:5]
	v_mul_f64 v[122:123], v[138:139], s[8:9]
	v_add_f64 v[32:33], v[34:35], v[44:45]
	v_add_f64 v[136:137], v[148:149], v[136:137]
	v_mul_f64 v[138:139], v[144:145], s[18:19]
	v_add_f64 v[84:85], v[194:195], v[106:107]
	v_add_f64 v[22:23], v[86:87], v[22:23]
	v_mul_f64 v[118:119], v[144:145], s[6:7]
	v_mul_f64 v[120:121], v[144:145], s[16:17]
	v_add_f64 v[34:35], v[196:197], v[114:115]
	v_add_f64 v[32:33], v[32:33], v[46:47]
	;; [unrolled: 1-line block ×5, first 2 shown]
	v_mul_f64 v[126:127], v[144:145], s[8:9]
	v_mul_f64 v[108:109], v[144:145], s[2:3]
	v_add_f64 v[102:103], v[116:117], v[102:103]
	v_add_f64 v[116:117], v[198:199], v[134:135]
	;; [unrolled: 1-line block ×3, first 2 shown]
	v_mul_f64 v[130:131], v[144:145], s[14:15]
	v_add_f64 v[122:123], v[122:123], v[140:141]
	v_add_f64 v[92:93], v[136:137], v[92:93]
	;; [unrolled: 1-line block ×21, first 2 shown]
	v_mov_b32_e32 v39, 3
	v_mul_u32_u24_e32 v38, 0x410, v67
	v_lshlrev_b32_sdwa v39, v39, v157 dst_sel:DWORD dst_unused:UNUSED_PAD src0_sel:DWORD src1_sel:BYTE_0
	v_add3_u32 v38, 0, v38, v39
	ds_write2_b64 v38, v[32:33], v[22:23] offset1:10
	ds_write2_b64 v38, v[26:27], v[34:35] offset0:20 offset1:30
	ds_write2_b64 v38, v[4:5], v[84:85] offset0:40 offset1:50
	;; [unrolled: 1-line block ×5, first 2 shown]
	ds_write_b64 v38, v[6:7] offset:960
.LBB0_19:
	s_or_b64 exec, exec, s[22:23]
	v_lshl_add_u32 v156, v66, 3, 0
	s_waitcnt lgkmcnt(0)
	s_barrier
	ds_read_b64 v[22:23], v156
	ds_read_b64 v[38:39], v156 offset:2080
	ds_read_b64 v[34:35], v156 offset:4160
	;; [unrolled: 1-line block ×6, first 2 shown]
	s_movk_i32 s2, 0x4e
	v_cmp_gt_u32_e64 s[2:3], s2, v66
                                        ; implicit-def: $vgpr4_vgpr5
	s_and_saveexec_b64 s[6:7], s[2:3]
	s_cbranch_execz .LBB0_21
; %bb.20:
	ds_read_b64 v[2:3], v156 offset:1456
	ds_read_b64 v[14:15], v156 offset:3536
	;; [unrolled: 1-line block ×7, first 2 shown]
.LBB0_21:
	s_or_b64 exec, exec, s[6:7]
	v_add_f64 v[92:93], v[58:59], v[16:17]
	s_mov_b32 s26, 0xe00740e9
	s_mov_b32 s27, 0x3fec55a7
	v_add_f64 v[86:87], v[80:81], -v[82:83]
	s_mov_b32 s14, 0x4267c47c
	s_mov_b32 s36, 0xb2365da1
	;; [unrolled: 1-line block ×4, first 2 shown]
	v_mul_f64 v[80:81], v[92:93], s[26:27]
	v_mul_f64 v[88:89], v[92:93], s[36:37]
	s_mov_b32 s28, 0x1ea71119
	s_mov_b32 s30, 0xebaa3ed8
	;; [unrolled: 1-line block ×6, first 2 shown]
	v_fma_f64 v[90:91], v[86:87], s[14:15], v[80:81]
	s_mov_b32 s7, 0xbfedeba7
	s_mov_b32 s43, 0xbfe7f3cc
	v_mul_f64 v[82:83], v[92:93], s[28:29]
	v_mul_f64 v[84:85], v[92:93], s[30:31]
	v_fma_f64 v[100:101], v[86:87], s[6:7], v[88:89]
	v_add_f64 v[102:103], v[56:57], v[18:19]
	s_mov_b32 s8, 0x42a4c3d2
	v_add_f64 v[98:99], v[0:1], v[90:91]
	v_mul_f64 v[90:91], v[92:93], s[42:43]
	s_mov_b32 s22, 0x66966769
	s_mov_b32 s18, 0x24c2f84
	;; [unrolled: 1-line block ×5, first 2 shown]
	v_fma_f64 v[94:95], v[86:87], s[8:9], v[82:83]
	v_fma_f64 v[96:97], v[86:87], s[22:23], v[84:85]
	v_add_f64 v[106:107], v[78:79], -v[76:77]
	v_mul_f64 v[76:77], v[102:103], s[28:29]
	v_mul_f64 v[78:79], v[102:103], s[36:37]
	v_fma_f64 v[104:105], v[86:87], s[18:19], v[90:91]
	v_add_f64 v[118:119], v[0:1], v[100:101]
	v_mul_f64 v[100:101], v[102:103], s[30:31]
	s_mov_b32 s46, 0x93053d00
	s_mov_b32 s47, 0xbfef11f4
	;; [unrolled: 1-line block ×4, first 2 shown]
	v_mul_f64 v[92:93], v[92:93], s[46:47]
	v_add_f64 v[110:111], v[0:1], v[94:95]
	v_fma_f64 v[112:113], v[106:107], s[8:9], v[76:77]
	v_fma_f64 v[114:115], v[106:107], s[6:7], v[78:79]
	v_add_f64 v[116:117], v[0:1], v[96:97]
	v_mul_f64 v[94:95], v[102:103], s[46:47]
	v_add_f64 v[104:105], v[0:1], v[104:105]
	v_mul_f64 v[96:97], v[102:103], s[42:43]
	v_add_f64 v[120:121], v[54:55], v[20:21]
	v_add_f64 v[136:137], v[74:75], -v[46:47]
	v_fma_f64 v[46:47], v[106:107], s[16:17], v[100:101]
	s_mov_b32 s24, 0x4bc48dbf
	s_mov_b32 s25, 0xbfcea1e5
	;; [unrolled: 1-line block ×4, first 2 shown]
	v_fma_f64 v[108:109], v[86:87], s[24:25], v[92:93]
	v_add_f64 v[112:113], v[112:113], v[98:99]
	v_add_f64 v[110:111], v[114:115], v[110:111]
	v_fma_f64 v[114:115], v[106:107], s[24:25], v[94:95]
	v_fma_f64 v[122:123], v[106:107], s[38:39], v[96:97]
	v_mul_f64 v[102:103], v[102:103], s[26:27]
	v_mul_f64 v[74:75], v[120:121], s[30:31]
	v_mul_f64 v[98:99], v[120:121], s[46:47]
	v_add_f64 v[46:47], v[46:47], v[104:105]
	v_mul_f64 v[104:105], v[120:121], s[36:37]
	v_add_f64 v[132:133], v[52:53], v[24:25]
	s_mov_b32 s35, 0x3fddbe06
	s_mov_b32 s34, s14
	;; [unrolled: 1-line block ×4, first 2 shown]
	v_add_f64 v[108:109], v[0:1], v[108:109]
	v_fma_f64 v[124:125], v[106:107], s[34:35], v[102:103]
	v_fma_f64 v[126:127], v[136:137], s[22:23], v[74:75]
	v_fma_f64 v[128:129], v[136:137], s[24:25], v[98:99]
	v_add_f64 v[130:131], v[114:115], v[116:117]
	v_add_f64 v[122:123], v[122:123], v[118:119]
	v_mul_f64 v[114:115], v[120:121], s[26:27]
	v_fma_f64 v[134:135], v[136:137], s[44:45], v[104:105]
	v_mul_f64 v[118:119], v[120:121], s[28:29]
	v_add_f64 v[152:153], v[72:73], -v[44:45]
	v_mul_f64 v[72:73], v[132:133], s[36:37]
	v_add_f64 v[124:125], v[124:125], v[108:109]
	v_add_f64 v[126:127], v[126:127], v[112:113]
	;; [unrolled: 1-line block ×3, first 2 shown]
	v_mul_f64 v[116:117], v[120:121], s[42:43]
	v_mul_f64 v[108:109], v[132:133], s[42:43]
	v_fma_f64 v[44:45], v[136:137], s[34:35], v[114:115]
	v_mul_f64 v[110:111], v[132:133], s[26:27]
	v_mul_f64 v[112:113], v[132:133], s[30:31]
	v_fma_f64 v[120:121], v[136:137], s[8:9], v[118:119]
	v_add_f64 v[130:131], v[134:135], v[130:131]
	v_fma_f64 v[134:135], v[152:153], s[6:7], v[72:73]
	v_fma_f64 v[138:139], v[136:137], s[18:19], v[116:117]
	;; [unrolled: 1-line block ×3, first 2 shown]
	v_add_f64 v[44:45], v[44:45], v[122:123]
	v_fma_f64 v[122:123], v[152:153], s[34:35], v[110:111]
	v_fma_f64 v[142:143], v[152:153], s[22:23], v[112:113]
	v_add_f64 v[46:47], v[120:121], v[46:47]
	v_mul_f64 v[120:121], v[132:133], s[46:47]
	v_add_f64 v[144:145], v[134:135], v[126:127]
	v_add_f64 v[134:135], v[50:51], v[28:29]
	s_mov_b32 s49, 0x3fcea1e5
	s_mov_b32 s48, s24
	v_add_f64 v[138:139], v[138:139], v[124:125]
	v_add_f64 v[140:141], v[140:141], v[128:129]
	;; [unrolled: 1-line block ×4, first 2 shown]
	v_fma_f64 v[142:143], v[152:153], s[48:49], v[120:121]
	v_mul_f64 v[130:131], v[132:133], s[28:29]
	v_add_f64 v[154:155], v[70:71], -v[42:43]
	v_mul_f64 v[122:123], v[134:135], s[42:43]
	v_mul_f64 v[124:125], v[134:135], s[30:31]
	;; [unrolled: 1-line block ×4, first 2 shown]
	s_mov_b32 s41, 0x3fea55e2
	s_mov_b32 s40, s8
	v_fma_f64 v[42:43], v[152:153], s[40:41], v[130:131]
	v_add_f64 v[46:47], v[142:143], v[46:47]
	v_fma_f64 v[70:71], v[154:155], s[18:19], v[122:123]
	v_fma_f64 v[142:143], v[154:155], s[16:17], v[124:125]
	;; [unrolled: 1-line block ×4, first 2 shown]
	v_mul_f64 v[132:133], v[134:135], s[26:27]
	v_mul_f64 v[134:135], v[134:135], s[36:37]
	v_add_f64 v[158:159], v[48:49], v[30:31]
	v_add_f64 v[42:43], v[42:43], v[138:139]
	;; [unrolled: 1-line block ×6, first 2 shown]
	v_fma_f64 v[44:45], v[154:155], s[34:35], v[132:133]
	v_fma_f64 v[166:167], v[154:155], s[6:7], v[134:135]
	v_add_f64 v[150:151], v[60:61], -v[62:63]
	v_mul_f64 v[138:139], v[158:159], s[46:47]
	v_mul_f64 v[140:141], v[158:159], s[26:27]
	v_mul_f64 v[142:143], v[158:159], s[42:43]
	v_mul_f64 v[144:145], v[158:159], s[28:29]
	v_mul_f64 v[146:147], v[158:159], s[36:37]
	v_mul_f64 v[148:149], v[158:159], s[30:31]
	v_add_f64 v[158:159], v[44:45], v[46:47]
	v_add_f64 v[42:43], v[166:167], v[42:43]
	v_fma_f64 v[44:45], v[150:151], s[24:25], v[138:139]
	v_fma_f64 v[46:47], v[150:151], s[34:35], v[140:141]
	;; [unrolled: 1-line block ×6, first 2 shown]
	s_waitcnt lgkmcnt(0)
	s_barrier
	v_add_f64 v[44:45], v[44:45], v[70:71]
	v_add_f64 v[46:47], v[46:47], v[160:161]
	;; [unrolled: 1-line block ×6, first 2 shown]
	s_and_saveexec_b64 s[26:27], s[0:1]
	s_cbranch_execz .LBB0_23
; %bb.22:
	v_add_f64 v[58:59], v[0:1], v[58:59]
	v_mul_f64 v[158:159], v[86:87], s[14:15]
	v_mul_f64 v[160:161], v[86:87], s[8:9]
	;; [unrolled: 1-line block ×7, first 2 shown]
	v_add_f64 v[56:57], v[58:59], v[56:57]
	v_mul_f64 v[58:59], v[106:107], s[6:7]
	v_mul_f64 v[170:171], v[106:107], s[24:25]
	;; [unrolled: 1-line block ×3, first 2 shown]
	v_add_f64 v[80:81], v[80:81], -v[158:159]
	v_add_f64 v[82:83], v[82:83], -v[160:161]
	;; [unrolled: 1-line block ×4, first 2 shown]
	v_add_f64 v[54:55], v[56:57], v[54:55]
	v_mul_f64 v[174:175], v[106:107], s[16:17]
	v_add_f64 v[86:87], v[92:93], -v[86:87]
	v_mul_f64 v[106:107], v[106:107], s[34:35]
	v_mul_f64 v[176:177], v[136:137], s[22:23]
	;; [unrolled: 1-line block ×5, first 2 shown]
	v_add_f64 v[52:53], v[54:55], v[52:53]
	v_add_f64 v[80:81], v[0:1], v[80:81]
	;; [unrolled: 1-line block ×5, first 2 shown]
	v_add_f64 v[58:59], v[78:79], -v[58:59]
	v_add_f64 v[78:79], v[96:97], -v[172:173]
	v_mul_f64 v[182:183], v[136:137], s[8:9]
	v_add_f64 v[50:51], v[52:53], v[50:51]
	v_mul_f64 v[136:137], v[136:137], s[18:19]
	v_add_f64 v[92:93], v[102:103], -v[106:107]
	v_mul_f64 v[184:185], v[152:153], s[6:7]
	v_mul_f64 v[186:187], v[152:153], s[38:39]
	;; [unrolled: 1-line block ×4, first 2 shown]
	v_add_f64 v[74:75], v[74:75], -v[176:177]
	v_add_f64 v[48:49], v[50:51], v[48:49]
	v_add_f64 v[50:51], v[90:91], -v[166:167]
	v_add_f64 v[56:57], v[104:105], -v[56:57]
	v_mul_f64 v[190:191], v[152:153], s[48:49]
	v_mul_f64 v[152:153], v[152:153], s[40:41]
	;; [unrolled: 1-line block ×5, first 2 shown]
	v_add_f64 v[30:31], v[48:49], v[30:31]
	v_add_f64 v[48:49], v[0:1], v[50:51]
	v_add_f64 v[50:51], v[76:77], -v[168:169]
	v_add_f64 v[76:77], v[94:95], -v[170:171]
	v_add_f64 v[0:1], v[0:1], v[86:87]
	v_add_f64 v[86:87], v[100:101], -v[174:175]
	v_mul_f64 v[198:199], v[154:155], s[48:49]
	v_add_f64 v[54:55], v[112:113], -v[54:55]
	v_add_f64 v[28:29], v[30:31], v[28:29]
	v_mul_f64 v[52:53], v[154:155], s[34:35]
	v_add_f64 v[30:31], v[50:51], v[80:81]
	v_add_f64 v[50:51], v[58:59], v[82:83]
	;; [unrolled: 1-line block ×4, first 2 shown]
	v_add_f64 v[78:79], v[98:99], -v[178:179]
	v_add_f64 v[80:81], v[114:115], -v[180:181]
	v_add_f64 v[48:49], v[86:87], v[48:49]
	v_add_f64 v[82:83], v[118:119], -v[182:183]
	v_add_f64 v[0:1], v[92:93], v[0:1]
	;; [unrolled: 2-line block ×3, first 2 shown]
	v_add_f64 v[28:29], v[74:75], v[30:31]
	v_add_f64 v[30:31], v[78:79], v[50:51]
	;; [unrolled: 1-line block ×4, first 2 shown]
	v_add_f64 v[58:59], v[72:73], -v[184:185]
	v_add_f64 v[72:73], v[108:109], -v[186:187]
	;; [unrolled: 1-line block ×3, first 2 shown]
	v_add_f64 v[48:49], v[82:83], v[48:49]
	v_add_f64 v[76:77], v[120:121], -v[190:191]
	v_mul_f64 v[154:155], v[154:155], s[6:7]
	v_add_f64 v[0:1], v[84:85], v[0:1]
	v_add_f64 v[78:79], v[130:131], -v[152:153]
	v_mul_f64 v[200:201], v[150:151], s[24:25]
	v_add_f64 v[20:21], v[24:25], v[20:21]
	v_add_f64 v[24:25], v[58:59], v[28:29]
	;; [unrolled: 1-line block ×5, first 2 shown]
	v_add_f64 v[54:55], v[122:123], -v[192:193]
	v_add_f64 v[56:57], v[124:125], -v[194:195]
	;; [unrolled: 1-line block ×4, first 2 shown]
	v_mul_f64 v[90:91], v[150:151], s[34:35]
	v_mul_f64 v[94:95], v[150:151], s[18:19]
	v_add_f64 v[48:49], v[76:77], v[48:49]
	v_add_f64 v[52:53], v[132:133], -v[52:53]
	v_mul_f64 v[86:87], v[150:151], s[40:41]
	v_mul_f64 v[80:81], v[150:151], s[6:7]
	v_add_f64 v[0:1], v[78:79], v[0:1]
	v_add_f64 v[74:75], v[134:135], -v[154:155]
	v_mul_f64 v[76:77], v[150:151], s[16:17]
	v_add_f64 v[18:19], v[20:21], v[18:19]
	v_add_f64 v[20:21], v[54:55], v[24:25]
	;; [unrolled: 1-line block ×5, first 2 shown]
	v_add_f64 v[50:51], v[138:139], -v[200:201]
	v_add_f64 v[48:49], v[52:53], v[48:49]
	v_add_f64 v[52:53], v[140:141], -v[90:91]
	v_add_f64 v[54:55], v[142:143], -v[94:95]
	;; [unrolled: 1-line block ×4, first 2 shown]
	v_add_f64 v[0:1], v[74:75], v[0:1]
	v_add_f64 v[72:73], v[148:149], -v[76:77]
	v_add_f64 v[16:17], v[18:19], v[16:17]
	v_add_f64 v[18:19], v[50:51], v[20:21]
	v_add_f64 v[20:21], v[52:53], v[24:25]
	v_add_f64 v[24:25], v[54:55], v[28:29]
	v_add_f64 v[28:29], v[56:57], v[30:31]
	v_add_f64 v[30:31], v[58:59], v[48:49]
	v_mov_b32_e32 v49, 3
	v_add_f64 v[0:1], v[72:73], v[0:1]
	v_mul_u32_u24_e32 v48, 0x410, v67
	v_lshlrev_b32_sdwa v49, v49, v157 dst_sel:DWORD dst_unused:UNUSED_PAD src0_sel:DWORD src1_sel:BYTE_0
	v_add3_u32 v48, 0, v48, v49
	ds_write2_b64 v48, v[16:17], v[18:19] offset1:10
	ds_write2_b64 v48, v[20:21], v[24:25] offset0:20 offset1:30
	ds_write2_b64 v48, v[28:29], v[30:31] offset0:40 offset1:50
	;; [unrolled: 1-line block ×5, first 2 shown]
	ds_write_b64 v48, v[44:45] offset:960
.LBB0_23:
	s_or_b64 exec, exec, s[26:27]
	s_waitcnt lgkmcnt(0)
	s_barrier
	ds_read_b64 v[16:17], v156
	ds_read_b64 v[48:49], v156 offset:2080
	ds_read_b64 v[30:31], v156 offset:4160
	;; [unrolled: 1-line block ×6, first 2 shown]
                                        ; implicit-def: $vgpr0_vgpr1
	s_and_saveexec_b64 s[0:1], s[2:3]
	s_cbranch_execz .LBB0_25
; %bb.24:
	ds_read_b64 v[42:43], v156 offset:1456
	ds_read_b64 v[70:71], v156 offset:3536
	ds_read_b64 v[62:63], v156 offset:5616
	ds_read_b64 v[60:61], v156 offset:7696
	ds_read_b64 v[46:47], v156 offset:9776
	ds_read_b64 v[44:45], v156 offset:11856
	ds_read_b64 v[0:1], v156 offset:13936
.LBB0_25:
	s_or_b64 exec, exec, s[0:1]
	s_movk_i32 s0, 0x82
	v_add_u32_e32 v50, 0xffffff7e, v66
	v_cmp_gt_u32_e64 s[0:1], s0, v66
	v_cndmask_b32_e64 v72, v50, v66, s[0:1]
	v_mul_i32_i24_e32 v50, 6, v72
	v_mov_b32_e32 v51, 0
	v_lshlrev_b64 v[50:51], 4, v[50:51]
	v_mov_b32_e32 v52, s13
	v_add_co_u32_e64 v50, s[0:1], s12, v50
	v_addc_co_u32_e64 v51, s[0:1], v52, v51, s[0:1]
	global_load_dwordx4 v[56:59], v[50:51], off offset:1936
	global_load_dwordx4 v[52:55], v[50:51], off offset:1920
	;; [unrolled: 1-line block ×6, first 2 shown]
	v_add_u32_e32 v67, 0xb6, v66
	s_movk_i32 s0, 0xfc1
	v_mul_u32_u24_sdwa v50, v67, s0 dst_sel:DWORD dst_unused:UNUSED_PAD src0_sel:WORD_0 src1_sel:DWORD
	v_lshrrev_b32_e32 v50, 19, v50
	v_mul_lo_u16_e32 v50, 0x82, v50
	v_sub_u16_e32 v132, v67, v50
	v_mul_u32_u24_e32 v50, 6, v132
	v_lshlrev_b32_e32 v50, 4, v50
	global_load_dwordx4 v[92:95], v50, s[12:13] offset:1920
	global_load_dwordx4 v[96:99], v50, s[12:13] offset:1936
	;; [unrolled: 1-line block ×6, first 2 shown]
	s_movk_i32 s0, 0x81
	v_mov_b32_e32 v50, 0x1c70
	v_cmp_lt_u32_e64 s[0:1], s0, v66
	v_cndmask_b32_e64 v50, 0, v50, s[0:1]
	v_lshlrev_b32_e32 v51, 3, v72
	v_add3_u32 v67, 0, v50, v51
	s_mov_b32 s8, 0x37e14327
	s_mov_b32 s16, 0xe976ee23
	;; [unrolled: 1-line block ×20, first 2 shown]
	v_add_u32_e32 v82, 0x800, v67
	v_add_u32_e32 v83, 0x1000, v67
	s_waitcnt vmcnt(0) lgkmcnt(0)
	s_barrier
	v_mul_f64 v[72:73], v[30:31], v[58:59]
	v_mul_f64 v[50:51], v[48:49], v[54:55]
	;; [unrolled: 1-line block ×12, first 2 shown]
	v_fma_f64 v[50:51], v[38:39], v[52:53], v[50:51]
	v_fma_f64 v[54:55], v[48:49], v[52:53], -v[54:55]
	v_fma_f64 v[52:53], v[34:35], v[56:57], v[72:73]
	v_fma_f64 v[48:49], v[40:41], v[88:89], v[122:123]
	v_fma_f64 v[72:73], v[36:37], v[78:79], v[120:121]
	v_fma_f64 v[56:57], v[30:31], v[56:57], -v[58:59]
	v_fma_f64 v[58:59], v[32:33], v[74:75], v[116:117]
	v_fma_f64 v[74:75], v[24:25], v[74:75], -v[76:77]
	v_fma_f64 v[78:79], v[28:29], v[78:79], -v[80:81]
	v_fma_f64 v[76:77], v[26:27], v[84:85], v[118:119]
	v_fma_f64 v[18:19], v[18:19], v[84:85], -v[86:87]
	v_fma_f64 v[80:81], v[20:21], v[88:89], -v[90:91]
	v_add_f64 v[28:29], v[50:51], v[48:49]
	v_add_f64 v[30:31], v[52:53], v[72:73]
	v_mul_f64 v[124:125], v[70:71], v[94:95]
	v_mul_f64 v[94:95], v[14:15], v[94:95]
	v_add_f64 v[26:27], v[56:57], -v[78:79]
	v_add_f64 v[32:33], v[58:59], v[76:77]
	v_add_f64 v[38:39], v[18:19], -v[74:75]
	v_add_f64 v[84:85], v[54:55], -v[80:81]
	v_mul_f64 v[126:127], v[62:63], v[98:99]
	v_add_f64 v[86:87], v[30:31], v[28:29]
	v_mul_f64 v[130:131], v[46:47], v[106:107]
	v_mul_f64 v[34:35], v[8:9], v[106:107]
	v_fma_f64 v[20:21], v[14:15], v[92:93], v[124:125]
	v_add_f64 v[14:15], v[28:29], -v[32:33]
	v_add_f64 v[106:107], v[38:39], -v[26:27]
	v_fma_f64 v[24:25], v[70:71], v[92:93], -v[94:95]
	v_add_f64 v[70:71], v[26:27], -v[84:85]
	v_add_f64 v[86:87], v[32:33], v[86:87]
	v_add_f64 v[32:33], v[32:33], -v[30:31]
	v_mul_f64 v[98:99], v[12:13], v[98:99]
	v_add_f64 v[92:93], v[38:39], v[26:27]
	v_add_f64 v[38:39], v[84:85], -v[38:39]
	v_mul_f64 v[14:15], v[14:15], s[8:9]
	v_mul_f64 v[94:95], v[106:107], s[16:17]
	v_fma_f64 v[26:27], v[12:13], v[96:97], v[126:127]
	v_mul_f64 v[12:13], v[70:71], s[14:15]
	v_add_f64 v[106:107], v[22:23], v[86:87]
	v_add_f64 v[22:23], v[30:31], -v[28:29]
	v_mul_f64 v[28:29], v[32:33], s[6:7]
	v_mul_f64 v[128:129], v[60:61], v[102:103]
	v_add_f64 v[30:31], v[92:93], v[84:85]
	v_fma_f64 v[32:33], v[32:33], s[6:7], v[14:15]
	v_fma_f64 v[84:85], v[38:39], s[26:27], v[94:95]
	v_fma_f64 v[70:71], v[70:71], s[14:15], -v[94:95]
	v_fma_f64 v[12:13], v[38:39], s[30:31], -v[12:13]
	v_fma_f64 v[38:39], v[86:87], s[18:19], v[106:107]
	v_fma_f64 v[14:15], v[22:23], s[24:25], -v[14:15]
	v_fma_f64 v[86:87], v[22:23], s[22:23], -v[28:29]
	v_mul_f64 v[102:103], v[10:11], v[102:103]
	v_mul_f64 v[36:37], v[44:45], v[110:111]
	v_fma_f64 v[28:29], v[62:63], v[96:97], -v[98:99]
	v_fma_f64 v[22:23], v[10:11], v[100:101], v[128:129]
	v_fma_f64 v[10:11], v[30:31], s[28:29], v[84:85]
	;; [unrolled: 1-line block ×3, first 2 shown]
	v_add_f64 v[70:71], v[32:33], v[38:39]
	v_mul_f64 v[40:41], v[6:7], v[110:111]
	v_mul_f64 v[88:89], v[0:1], v[114:115]
	;; [unrolled: 1-line block ×3, first 2 shown]
	v_fma_f64 v[12:13], v[30:31], s[28:29], v[12:13]
	v_add_f64 v[14:15], v[14:15], v[38:39]
	v_add_f64 v[84:85], v[86:87], v[38:39]
	v_fma_f64 v[36:37], v[6:7], v[108:109], v[36:37]
	v_add_f64 v[6:7], v[10:11], v[70:71]
	v_fma_f64 v[30:31], v[60:61], v[100:101], -v[102:103]
	v_fma_f64 v[32:33], v[8:9], v[104:105], v[130:131]
	v_fma_f64 v[34:35], v[46:47], v[104:105], -v[34:35]
	v_fma_f64 v[38:39], v[44:45], v[108:109], -v[40:41]
	v_add_f64 v[8:9], v[12:13], v[14:15]
	v_add_f64 v[46:47], v[84:85], -v[62:63]
	v_fma_f64 v[40:41], v[4:5], v[112:113], v[88:89]
	v_fma_f64 v[44:45], v[0:1], v[112:113], -v[90:91]
	v_add_f64 v[60:61], v[62:63], v[84:85]
	v_add_f64 v[12:13], v[14:15], -v[12:13]
	v_add_f64 v[10:11], v[70:71], -v[10:11]
	ds_write2_b64 v67, v[106:107], v[6:7] offset1:130
	ds_write2_b64 v82, v[8:9], v[46:47] offset0:4 offset1:134
	ds_write2_b64 v83, v[60:61], v[12:13] offset0:8 offset1:138
	ds_write_b64 v67, v[10:11] offset:6240
	v_lshl_add_u32 v46, v132, 3, 0
	s_and_saveexec_b64 s[0:1], s[2:3]
	s_cbranch_execz .LBB0_27
; %bb.26:
	v_add_f64 v[0:1], v[26:27], v[36:37]
	v_add_f64 v[4:5], v[20:21], v[40:41]
	v_add_f64 v[6:7], v[34:35], -v[30:31]
	v_add_f64 v[8:9], v[28:29], -v[38:39]
	v_add_f64 v[10:11], v[22:23], v[32:33]
	v_add_f64 v[12:13], v[24:25], -v[44:45]
	v_add_f64 v[14:15], v[0:1], v[4:5]
	v_add_f64 v[60:61], v[6:7], -v[8:9]
	v_add_f64 v[62:63], v[4:5], -v[10:11]
	;; [unrolled: 1-line block ×4, first 2 shown]
	v_add_f64 v[8:9], v[6:7], v[8:9]
	v_add_f64 v[6:7], v[12:13], -v[6:7]
	v_add_f64 v[10:11], v[10:11], v[14:15]
	v_add_f64 v[0:1], v[0:1], -v[4:5]
	v_mul_f64 v[4:5], v[60:61], s[16:17]
	v_mul_f64 v[14:15], v[62:63], s[8:9]
	;; [unrolled: 1-line block ×4, first 2 shown]
	v_add_f64 v[8:9], v[8:9], v[12:13]
	v_add_f64 v[2:3], v[2:3], v[10:11]
	v_fma_f64 v[12:13], v[6:7], s[26:27], v[4:5]
	v_fma_f64 v[86:87], v[0:1], s[24:25], -v[14:15]
	v_fma_f64 v[6:7], v[6:7], s[30:31], -v[60:61]
	;; [unrolled: 1-line block ×4, first 2 shown]
	v_fma_f64 v[14:15], v[84:85], s[6:7], v[14:15]
	v_fma_f64 v[10:11], v[10:11], s[18:19], v[2:3]
	;; [unrolled: 1-line block ×5, first 2 shown]
	v_add_f64 v[8:9], v[86:87], v[10:11]
	v_add_f64 v[0:1], v[0:1], v[10:11]
	;; [unrolled: 1-line block ×3, first 2 shown]
	v_add_f64 v[14:15], v[8:9], -v[6:7]
	v_add_f64 v[60:61], v[0:1], -v[4:5]
	v_add_f64 v[62:63], v[12:13], v[10:11]
	v_add_f64 v[6:7], v[6:7], v[8:9]
	;; [unrolled: 1-line block ×3, first 2 shown]
	v_add_f64 v[4:5], v[10:11], -v[12:13]
	v_add_u32_e32 v8, 0x1c00, v46
	v_add_u32_e32 v9, 0x2400, v46
	;; [unrolled: 1-line block ×3, first 2 shown]
	ds_write2_b64 v8, v[2:3], v[62:63] offset0:14 offset1:144
	ds_write2_b64 v9, v[6:7], v[60:61] offset0:18 offset1:148
	;; [unrolled: 1-line block ×3, first 2 shown]
	ds_write_b64 v46, v[4:5] offset:13520
.LBB0_27:
	s_or_b64 exec, exec, s[0:1]
	v_add_f64 v[4:5], v[54:55], v[80:81]
	v_add_f64 v[6:7], v[56:57], v[78:79]
	v_add_f64 v[0:1], v[52:53], -v[72:73]
	v_add_f64 v[2:3], v[74:75], v[18:19]
	v_add_f64 v[8:9], v[76:77], -v[58:59]
	v_add_f64 v[10:11], v[50:51], -v[48:49]
	s_waitcnt lgkmcnt(0)
	s_barrier
	v_add_f64 v[12:13], v[6:7], v[4:5]
	v_add_u32_e32 v63, 0x2c00, v156
	v_add_f64 v[14:15], v[4:5], -v[2:3]
	v_add_f64 v[18:19], v[8:9], -v[0:1]
	;; [unrolled: 1-line block ×4, first 2 shown]
	v_add_f64 v[51:52], v[8:9], v[0:1]
	v_add_f64 v[8:9], v[10:11], -v[8:9]
	v_add_f64 v[12:13], v[2:3], v[12:13]
	v_add_f64 v[4:5], v[6:7], -v[4:5]
	v_mul_f64 v[14:15], v[14:15], s[8:9]
	v_mul_f64 v[18:19], v[18:19], s[16:17]
	;; [unrolled: 1-line block ×4, first 2 shown]
	v_add_f64 v[10:11], v[51:52], v[10:11]
	ds_read2_b64 v[0:3], v156 offset1:182
	v_add_f64 v[55:56], v[16:17], v[12:13]
	v_fma_f64 v[16:17], v[49:50], s[6:7], v[14:15]
	v_fma_f64 v[49:50], v[8:9], s[26:27], v[18:19]
	v_fma_f64 v[18:19], v[47:48], s[14:15], -v[18:19]
	v_fma_f64 v[8:9], v[8:9], s[30:31], -v[53:54]
	;; [unrolled: 1-line block ×4, first 2 shown]
	v_fma_f64 v[12:13], v[12:13], s[18:19], v[55:56]
	v_add_u32_e32 v6, 0x1600, v156
	v_add_u32_e32 v7, 0x2000, v156
	v_fma_f64 v[47:48], v[10:11], s[28:29], v[49:50]
	v_fma_f64 v[18:19], v[10:11], s[28:29], v[18:19]
	;; [unrolled: 1-line block ×3, first 2 shown]
	v_add_f64 v[16:17], v[16:17], v[12:13]
	v_add_f64 v[51:52], v[14:15], v[12:13]
	;; [unrolled: 1-line block ×3, first 2 shown]
	v_add_u32_e32 v4, 0xa00, v156
	ds_read2_b64 v[8:11], v6 offset0:24 offset1:206
	ds_read2_b64 v[12:15], v7 offset0:68 offset1:250
	ds_read2_b64 v[4:7], v4 offset0:44 offset1:226
	v_add_f64 v[57:58], v[16:17], -v[47:48]
	v_add_f64 v[59:60], v[51:52], -v[49:50]
	v_add_f64 v[61:62], v[18:19], v[53:54]
	v_add_f64 v[53:54], v[53:54], -v[18:19]
	v_add_f64 v[49:50], v[49:50], v[51:52]
	v_add_f64 v[47:48], v[47:48], v[16:17]
	ds_read2_b64 v[16:19], v63 offset0:48 offset1:230
	s_waitcnt lgkmcnt(0)
	s_barrier
	ds_write2_b64 v67, v[55:56], v[57:58] offset1:130
	ds_write2_b64 v82, v[59:60], v[61:62] offset0:4 offset1:134
	ds_write2_b64 v83, v[53:54], v[49:50] offset0:8 offset1:138
	ds_write_b64 v67, v[47:48] offset:6240
	s_and_saveexec_b64 s[0:1], s[2:3]
	s_cbranch_execz .LBB0_29
; %bb.28:
	v_add_f64 v[24:25], v[24:25], v[44:45]
	v_add_f64 v[28:29], v[28:29], v[38:39]
	;; [unrolled: 1-line block ×3, first 2 shown]
	v_add_f64 v[22:23], v[32:33], -v[22:23]
	v_add_f64 v[26:27], v[26:27], -v[36:37]
	;; [unrolled: 1-line block ×3, first 2 shown]
	s_mov_b32 s2, 0x37e14327
	s_mov_b32 s3, 0x3fe948f6
	;; [unrolled: 1-line block ×3, first 2 shown]
	v_add_f64 v[32:33], v[28:29], v[24:25]
	v_add_f64 v[34:35], v[24:25], -v[30:31]
	v_add_f64 v[24:25], v[28:29], -v[24:25]
	v_add_f64 v[36:37], v[22:23], v[26:27]
	v_add_f64 v[38:39], v[22:23], -v[26:27]
	v_add_f64 v[26:27], v[26:27], -v[20:21]
	s_mov_b32 s9, 0x3fe11646
	v_add_f64 v[22:23], v[20:21], -v[22:23]
	v_add_f64 v[32:33], v[30:31], v[32:33]
	v_add_f64 v[30:31], v[30:31], -v[28:29]
	v_mul_f64 v[34:35], v[34:35], s[2:3]
	v_add_f64 v[20:21], v[36:37], v[20:21]
	v_mul_f64 v[36:37], v[38:39], s[8:9]
	v_mul_f64 v[38:39], v[26:27], s[14:15]
	s_mov_b32 s3, 0x3fe77f67
	s_mov_b32 s2, 0x5476071b
	v_add_f64 v[40:41], v[42:43], v[32:33]
	v_mul_f64 v[28:29], v[30:31], s[6:7]
	s_mov_b32 s16, 0xaaaaaaaa
	s_mov_b32 s17, 0xbff2aaaa
	v_fma_f64 v[30:31], v[30:31], s[6:7], v[34:35]
	v_fma_f64 v[26:27], v[26:27], s[14:15], -v[36:37]
	v_fma_f64 v[32:33], v[32:33], s[16:17], v[40:41]
	v_fma_f64 v[28:29], v[24:25], s[2:3], -v[28:29]
	s_mov_b32 s3, 0xbfe77f67
	v_fma_f64 v[24:25], v[24:25], s[2:3], -v[34:35]
	s_mov_b32 s3, 0xbfd5d0dc
	s_mov_b32 s2, 0xb247c609
	v_fma_f64 v[34:35], v[22:23], s[2:3], v[36:37]
	s_mov_b32 s3, 0x3fd5d0dc
	v_fma_f64 v[22:23], v[22:23], s[2:3], -v[38:39]
	s_mov_b32 s2, 0x37c3f68c
	s_mov_b32 s3, 0xbfdc38aa
	v_add_f64 v[30:31], v[30:31], v[32:33]
	v_add_f64 v[28:29], v[28:29], v[32:33]
	;; [unrolled: 1-line block ×3, first 2 shown]
	v_fma_f64 v[32:33], v[20:21], s[2:3], v[34:35]
	v_fma_f64 v[22:23], v[20:21], s[2:3], v[22:23]
	;; [unrolled: 1-line block ×3, first 2 shown]
	v_add_f64 v[26:27], v[30:31], -v[32:33]
	v_add_f64 v[34:35], v[24:25], -v[22:23]
	v_add_f64 v[36:37], v[20:21], v[28:29]
	v_add_f64 v[20:21], v[28:29], -v[20:21]
	v_add_f64 v[22:23], v[22:23], v[24:25]
	v_add_f64 v[24:25], v[32:33], v[30:31]
	v_add_u32_e32 v28, 0x1c00, v46
	ds_write2_b64 v28, v[40:41], v[26:27] offset0:14 offset1:144
	v_add_u32_e32 v26, 0x2400, v46
	ds_write2_b64 v26, v[34:35], v[36:37] offset0:18 offset1:148
	;; [unrolled: 2-line block ×3, first 2 shown]
	ds_write_b64 v46, v[24:25] offset:13520
.LBB0_29:
	s_or_b64 exec, exec, s[0:1]
	s_waitcnt lgkmcnt(0)
	s_barrier
	s_and_saveexec_b64 s[0:1], vcc
	s_cbranch_execz .LBB0_31
; %bb.30:
	v_add_u32_e32 v29, 0x2d8, v66
	v_mov_b32_e32 v30, 0
	v_lshlrev_b64 v[21:22], 4, v[29:30]
	v_mov_b32_e32 v35, s13
	v_add_co_u32_e32 v21, vcc, s12, v21
	v_addc_co_u32_e32 v22, vcc, v35, v22, vcc
	s_movk_i32 s0, 0x3000
	v_add_u32_e32 v20, 0x222, v66
	v_add_co_u32_e32 v31, vcc, s0, v21
	v_mov_b32_e32 v21, v30
	v_lshlrev_b64 v[20:21], 4, v[20:21]
	v_addc_co_u32_e32 v32, vcc, 0, v22, vcc
	v_add_co_u32_e32 v20, vcc, s12, v20
	v_add_u32_e32 v28, 0x16c, v66
	v_addc_co_u32_e32 v21, vcc, v35, v21, vcc
	v_mov_b32_e32 v29, v30
	v_add_co_u32_e32 v33, vcc, s0, v20
	v_lshlrev_b64 v[28:29], 4, v[28:29]
	v_addc_co_u32_e32 v34, vcc, 0, v21, vcc
	v_add_co_u32_e32 v28, vcc, s12, v28
	v_addc_co_u32_e32 v29, vcc, v35, v29, vcc
	v_add_co_u32_e32 v36, vcc, s0, v28
	v_mov_b32_e32 v67, v30
	v_addc_co_u32_e32 v37, vcc, 0, v29, vcc
	v_lshlrev_b64 v[28:29], 4, v[66:67]
	s_movk_i32 s1, 0x4000
	v_add_co_u32_e32 v40, vcc, s12, v28
	v_addc_co_u32_e32 v41, vcc, v35, v29, vcc
	v_add_co_u32_e32 v38, vcc, s1, v40
	v_addc_co_u32_e32 v39, vcc, 0, v41, vcc
	global_load_dwordx4 v[20:23], v[31:32], off offset:2112
	global_load_dwordx4 v[24:27], v[33:34], off offset:2112
	s_nop 0
	global_load_dwordx4 v[28:31], v[36:37], off offset:2112
	global_load_dwordx4 v[32:35], v[38:39], off offset:928
	v_add_co_u32_e32 v36, vcc, s0, v40
	v_addc_co_u32_e32 v37, vcc, 0, v41, vcc
	global_load_dwordx4 v[36:39], v[36:37], off offset:2112
	v_mad_u64_u32 v[60:61], s[0:1], s4, v68, 0
	v_add_u32_e32 v44, 0x1600, v156
	v_add_u32_e32 v48, 0x2c00, v156
	v_add_u32_e32 v52, 0xa00, v156
	v_add_u32_e32 v56, 0x2000, v156
	v_lshrrev_b32_e32 v53, 1, v66
	s_mov_b32 s0, 0x90090091
	ds_read2_b64 v[40:43], v156 offset1:182
	ds_read2_b64 v[44:47], v44 offset0:24 offset1:206
	ds_read2_b64 v[48:51], v48 offset0:48 offset1:230
	v_mul_hi_u32 v67, v53, s0
	ds_read2_b64 v[52:55], v52 offset0:44 offset1:226
	ds_read2_b64 v[56:59], v56 offset0:68 offset1:250
	v_mul_lo_u32 v62, s5, v68
	v_mul_lo_u32 v63, s4, v69
	s_movk_i32 s1, 0x71c
	v_add3_u32 v61, v61, v63, v62
	v_lshrrev_b32_e32 v62, 8, v67
	v_mul_u32_u24_e32 v62, 0x38e, v62
	v_sub_u32_e32 v77, v66, v62
	v_mad_u64_u32 v[62:63], s[2:3], s20, v77, 0
	s_waitcnt vmcnt(4)
	v_mul_f64 v[67:68], v[18:19], v[22:23]
	s_waitcnt lgkmcnt(2)
	v_mul_f64 v[22:23], v[50:51], v[22:23]
	s_waitcnt vmcnt(3)
	v_mul_f64 v[69:70], v[16:17], v[26:27]
	v_mul_f64 v[26:27], v[48:49], v[26:27]
	s_waitcnt vmcnt(2)
	v_mul_f64 v[71:72], v[14:15], v[30:31]
	s_waitcnt lgkmcnt(0)
	v_mul_f64 v[30:31], v[58:59], v[30:31]
	s_waitcnt vmcnt(1)
	v_mul_f64 v[73:74], v[12:13], v[34:35]
	v_mul_f64 v[34:35], v[56:57], v[34:35]
	s_waitcnt vmcnt(0)
	v_mul_f64 v[75:76], v[10:11], v[38:39]
	v_mul_f64 v[38:39], v[46:47], v[38:39]
	v_fma_f64 v[50:51], v[50:51], v[20:21], -v[67:68]
	v_fma_f64 v[18:19], v[18:19], v[20:21], v[22:23]
	v_fma_f64 v[20:21], v[48:49], v[24:25], -v[69:70]
	v_fma_f64 v[22:23], v[16:17], v[24:25], v[26:27]
	;; [unrolled: 2-line block ×4, first 2 shown]
	v_fma_f64 v[34:35], v[10:11], v[36:37], v[38:39]
	v_add_f64 v[10:11], v[8:9], -v[18:19]
	v_add_f64 v[16:17], v[54:55], -v[20:21]
	v_fma_f64 v[32:33], v[46:47], v[36:37], -v[75:76]
	v_add_f64 v[20:21], v[52:53], -v[24:25]
	v_add_f64 v[18:19], v[4:5], -v[26:27]
	;; [unrolled: 1-line block ×5, first 2 shown]
	v_mov_b32_e32 v38, v63
	v_add_f64 v[14:15], v[6:7], -v[22:23]
	v_add_f64 v[28:29], v[40:41], -v[32:33]
	;; [unrolled: 1-line block ×3, first 2 shown]
	v_fma_f64 v[34:35], v[4:5], 2.0, -v[18:19]
	v_fma_f64 v[4:5], v[42:43], 2.0, -v[24:25]
	v_mad_u64_u32 v[42:43], s[2:3], s21, v77, v[38:39]
	v_fma_f64 v[38:39], v[0:1], 2.0, -v[26:27]
	v_lshlrev_b64 v[0:1], 4, v[60:61]
	v_mov_b32_e32 v63, v42
	v_mov_b32_e32 v42, s11
	v_add_co_u32_e32 v43, vcc, s10, v0
	v_addc_co_u32_e32 v42, vcc, v42, v1, vcc
	v_lshlrev_b64 v[0:1], 4, v[64:65]
	v_fma_f64 v[32:33], v[44:45], 2.0, -v[12:13]
	v_add_co_u32_e32 v46, vcc, v43, v0
	v_add_u32_e32 v44, 0x38e, v77
	v_add_u32_e32 v45, 0xb6, v66
	v_addc_co_u32_e32 v47, vcc, v42, v1, vcc
	v_mad_u64_u32 v[42:43], s[2:3], s20, v44, 0
	v_lshrrev_b32_e32 v48, 1, v45
	v_mul_hi_u32 v48, v48, s0
	v_mad_u64_u32 v[43:44], s[2:3], s21, v44, v[43:44]
	v_fma_f64 v[40:41], v[40:41], 2.0, -v[28:29]
	v_lshrrev_b32_e32 v44, 8, v48
	v_mul_u32_u24_e32 v48, 0x38e, v44
	v_sub_u32_e32 v45, v45, v48
	v_mad_u32_u24 v48, v44, s1, v45
	v_lshlrev_b64 v[0:1], 4, v[62:63]
	v_mad_u64_u32 v[44:45], s[2:3], s20, v48, 0
	v_add_co_u32_e32 v0, vcc, v46, v0
	v_addc_co_u32_e32 v1, vcc, v47, v1, vcc
	global_store_dwordx4 v[0:1], v[38:41], off
	v_lshlrev_b64 v[0:1], 4, v[42:43]
	v_mov_b32_e32 v38, v45
	v_mad_u64_u32 v[38:39], s[2:3], s21, v48, v[38:39]
	v_add_co_u32_e32 v0, vcc, v46, v0
	v_addc_co_u32_e32 v1, vcc, v47, v1, vcc
	global_store_dwordx4 v[0:1], v[26:29], off
	v_mov_b32_e32 v45, v38
	v_add_u32_e32 v28, 0x38e, v48
	v_add_u32_e32 v29, 0x16c, v66
	v_mad_u64_u32 v[26:27], s[2:3], s20, v28, 0
	v_lshrrev_b32_e32 v38, 1, v29
	v_mul_hi_u32 v38, v38, s0
	v_mad_u64_u32 v[27:28], s[2:3], s21, v28, v[27:28]
	v_fma_f64 v[2:3], v[2:3], 2.0, -v[22:23]
	v_lshrrev_b32_e32 v28, 8, v38
	v_mul_u32_u24_e32 v38, 0x38e, v28
	v_sub_u32_e32 v29, v29, v38
	v_mad_u32_u24 v38, v28, s1, v29
	v_lshlrev_b64 v[0:1], 4, v[44:45]
	v_mad_u64_u32 v[28:29], s[2:3], s20, v38, 0
	v_add_co_u32_e32 v0, vcc, v46, v0
	v_addc_co_u32_e32 v1, vcc, v47, v1, vcc
	global_store_dwordx4 v[0:1], v[2:5], off
	v_lshlrev_b64 v[0:1], 4, v[26:27]
	v_mov_b32_e32 v2, v29
	v_mad_u64_u32 v[2:3], s[2:3], s21, v38, v[2:3]
	v_add_co_u32_e32 v0, vcc, v46, v0
	v_addc_co_u32_e32 v1, vcc, v47, v1, vcc
	v_add_u32_e32 v4, 0x38e, v38
	v_add_u32_e32 v5, 0x222, v66
	global_store_dwordx4 v[0:1], v[22:25], off
	v_mov_b32_e32 v29, v2
	v_mad_u64_u32 v[2:3], s[2:3], s20, v4, 0
	v_lshrrev_b32_e32 v22, 1, v5
	v_mul_hi_u32 v22, v22, s0
	v_mad_u64_u32 v[3:4], s[2:3], s21, v4, v[3:4]
	v_fma_f64 v[36:37], v[52:53], 2.0, -v[20:21]
	v_lshrrev_b32_e32 v4, 8, v22
	v_mul_u32_u24_e32 v22, 0x38e, v4
	v_sub_u32_e32 v5, v5, v22
	v_mad_u32_u24 v22, v4, s1, v5
	v_lshlrev_b64 v[0:1], 4, v[28:29]
	v_mad_u64_u32 v[4:5], s[2:3], s20, v22, 0
	v_add_co_u32_e32 v0, vcc, v46, v0
	v_addc_co_u32_e32 v1, vcc, v47, v1, vcc
	global_store_dwordx4 v[0:1], v[34:37], off
	v_lshlrev_b64 v[0:1], 4, v[2:3]
	v_mov_b32_e32 v2, v5
	v_mad_u64_u32 v[2:3], s[2:3], s21, v22, v[2:3]
	v_add_co_u32_e32 v0, vcc, v46, v0
	v_addc_co_u32_e32 v1, vcc, v47, v1, vcc
	v_mov_b32_e32 v5, v2
	global_store_dwordx4 v[0:1], v[18:21], off
	v_lshlrev_b64 v[0:1], 4, v[4:5]
	v_add_u32_e32 v4, 0x38e, v22
	v_mad_u64_u32 v[2:3], s[2:3], s20, v4, 0
	v_fma_f64 v[30:31], v[8:9], 2.0, -v[10:11]
	v_fma_f64 v[8:9], v[54:55], 2.0, -v[16:17]
	;; [unrolled: 1-line block ×3, first 2 shown]
	v_mad_u64_u32 v[3:4], s[2:3], s21, v4, v[3:4]
	v_add_u32_e32 v4, 0x2d8, v66
	v_lshrrev_b32_e32 v5, 1, v4
	v_mul_hi_u32 v5, v5, s0
	v_add_co_u32_e32 v0, vcc, v46, v0
	v_addc_co_u32_e32 v1, vcc, v47, v1, vcc
	global_store_dwordx4 v[0:1], v[6:9], off
	v_lshlrev_b64 v[0:1], 4, v[2:3]
	v_lshrrev_b32_e32 v2, 8, v5
	v_mul_u32_u24_e32 v3, 0x38e, v2
	v_sub_u32_e32 v3, v4, v3
	v_mad_u32_u24 v5, v2, s1, v3
	v_mad_u64_u32 v[2:3], s[0:1], s20, v5, 0
	v_add_u32_e32 v6, 0x38e, v5
	v_add_co_u32_e32 v0, vcc, v46, v0
	v_mad_u64_u32 v[3:4], s[0:1], s21, v5, v[3:4]
	v_mad_u64_u32 v[4:5], s[0:1], s20, v6, 0
	v_addc_co_u32_e32 v1, vcc, v47, v1, vcc
	global_store_dwordx4 v[0:1], v[14:17], off
	v_lshlrev_b64 v[0:1], 4, v[2:3]
	v_mov_b32_e32 v2, v5
	v_mad_u64_u32 v[2:3], s[0:1], s21, v6, v[2:3]
	v_add_co_u32_e32 v0, vcc, v46, v0
	v_addc_co_u32_e32 v1, vcc, v47, v1, vcc
	v_mov_b32_e32 v5, v2
	global_store_dwordx4 v[0:1], v[30:33], off
	v_lshlrev_b64 v[0:1], 4, v[4:5]
	v_add_co_u32_e32 v0, vcc, v46, v0
	v_addc_co_u32_e32 v1, vcc, v47, v1, vcc
	global_store_dwordx4 v[0:1], v[10:13], off
.LBB0_31:
	s_endpgm
	.section	.rodata,"a",@progbits
	.p2align	6, 0x0
	.amdhsa_kernel fft_rtc_back_len1820_factors_10_13_7_2_wgs_182_tpt_182_halfLds_dp_op_CI_CI_sbrr_dirReg
		.amdhsa_group_segment_fixed_size 0
		.amdhsa_private_segment_fixed_size 0
		.amdhsa_kernarg_size 104
		.amdhsa_user_sgpr_count 6
		.amdhsa_user_sgpr_private_segment_buffer 1
		.amdhsa_user_sgpr_dispatch_ptr 0
		.amdhsa_user_sgpr_queue_ptr 0
		.amdhsa_user_sgpr_kernarg_segment_ptr 1
		.amdhsa_user_sgpr_dispatch_id 0
		.amdhsa_user_sgpr_flat_scratch_init 0
		.amdhsa_user_sgpr_private_segment_size 0
		.amdhsa_uses_dynamic_stack 0
		.amdhsa_system_sgpr_private_segment_wavefront_offset 0
		.amdhsa_system_sgpr_workgroup_id_x 1
		.amdhsa_system_sgpr_workgroup_id_y 0
		.amdhsa_system_sgpr_workgroup_id_z 0
		.amdhsa_system_sgpr_workgroup_info 0
		.amdhsa_system_vgpr_workitem_id 0
		.amdhsa_next_free_vgpr 202
		.amdhsa_next_free_sgpr 50
		.amdhsa_reserve_vcc 1
		.amdhsa_reserve_flat_scratch 0
		.amdhsa_float_round_mode_32 0
		.amdhsa_float_round_mode_16_64 0
		.amdhsa_float_denorm_mode_32 3
		.amdhsa_float_denorm_mode_16_64 3
		.amdhsa_dx10_clamp 1
		.amdhsa_ieee_mode 1
		.amdhsa_fp16_overflow 0
		.amdhsa_exception_fp_ieee_invalid_op 0
		.amdhsa_exception_fp_denorm_src 0
		.amdhsa_exception_fp_ieee_div_zero 0
		.amdhsa_exception_fp_ieee_overflow 0
		.amdhsa_exception_fp_ieee_underflow 0
		.amdhsa_exception_fp_ieee_inexact 0
		.amdhsa_exception_int_div_zero 0
	.end_amdhsa_kernel
	.text
.Lfunc_end0:
	.size	fft_rtc_back_len1820_factors_10_13_7_2_wgs_182_tpt_182_halfLds_dp_op_CI_CI_sbrr_dirReg, .Lfunc_end0-fft_rtc_back_len1820_factors_10_13_7_2_wgs_182_tpt_182_halfLds_dp_op_CI_CI_sbrr_dirReg
                                        ; -- End function
	.section	.AMDGPU.csdata,"",@progbits
; Kernel info:
; codeLenInByte = 12896
; NumSgprs: 54
; NumVgprs: 202
; ScratchSize: 0
; MemoryBound: 1
; FloatMode: 240
; IeeeMode: 1
; LDSByteSize: 0 bytes/workgroup (compile time only)
; SGPRBlocks: 6
; VGPRBlocks: 50
; NumSGPRsForWavesPerEU: 54
; NumVGPRsForWavesPerEU: 202
; Occupancy: 1
; WaveLimiterHint : 1
; COMPUTE_PGM_RSRC2:SCRATCH_EN: 0
; COMPUTE_PGM_RSRC2:USER_SGPR: 6
; COMPUTE_PGM_RSRC2:TRAP_HANDLER: 0
; COMPUTE_PGM_RSRC2:TGID_X_EN: 1
; COMPUTE_PGM_RSRC2:TGID_Y_EN: 0
; COMPUTE_PGM_RSRC2:TGID_Z_EN: 0
; COMPUTE_PGM_RSRC2:TIDIG_COMP_CNT: 0
	.type	__hip_cuid_eba330bab10147ea,@object ; @__hip_cuid_eba330bab10147ea
	.section	.bss,"aw",@nobits
	.globl	__hip_cuid_eba330bab10147ea
__hip_cuid_eba330bab10147ea:
	.byte	0                               ; 0x0
	.size	__hip_cuid_eba330bab10147ea, 1

	.ident	"AMD clang version 19.0.0git (https://github.com/RadeonOpenCompute/llvm-project roc-6.4.0 25133 c7fe45cf4b819c5991fe208aaa96edf142730f1d)"
	.section	".note.GNU-stack","",@progbits
	.addrsig
	.addrsig_sym __hip_cuid_eba330bab10147ea
	.amdgpu_metadata
---
amdhsa.kernels:
  - .args:
      - .actual_access:  read_only
        .address_space:  global
        .offset:         0
        .size:           8
        .value_kind:     global_buffer
      - .offset:         8
        .size:           8
        .value_kind:     by_value
      - .actual_access:  read_only
        .address_space:  global
        .offset:         16
        .size:           8
        .value_kind:     global_buffer
      - .actual_access:  read_only
        .address_space:  global
        .offset:         24
        .size:           8
        .value_kind:     global_buffer
      - .actual_access:  read_only
        .address_space:  global
        .offset:         32
        .size:           8
        .value_kind:     global_buffer
      - .offset:         40
        .size:           8
        .value_kind:     by_value
      - .actual_access:  read_only
        .address_space:  global
        .offset:         48
        .size:           8
        .value_kind:     global_buffer
      - .actual_access:  read_only
        .address_space:  global
        .offset:         56
        .size:           8
        .value_kind:     global_buffer
      - .offset:         64
        .size:           4
        .value_kind:     by_value
      - .actual_access:  read_only
        .address_space:  global
        .offset:         72
        .size:           8
        .value_kind:     global_buffer
      - .actual_access:  read_only
        .address_space:  global
        .offset:         80
        .size:           8
        .value_kind:     global_buffer
      - .actual_access:  read_only
        .address_space:  global
        .offset:         88
        .size:           8
        .value_kind:     global_buffer
      - .actual_access:  write_only
        .address_space:  global
        .offset:         96
        .size:           8
        .value_kind:     global_buffer
    .group_segment_fixed_size: 0
    .kernarg_segment_align: 8
    .kernarg_segment_size: 104
    .language:       OpenCL C
    .language_version:
      - 2
      - 0
    .max_flat_workgroup_size: 182
    .name:           fft_rtc_back_len1820_factors_10_13_7_2_wgs_182_tpt_182_halfLds_dp_op_CI_CI_sbrr_dirReg
    .private_segment_fixed_size: 0
    .sgpr_count:     54
    .sgpr_spill_count: 0
    .symbol:         fft_rtc_back_len1820_factors_10_13_7_2_wgs_182_tpt_182_halfLds_dp_op_CI_CI_sbrr_dirReg.kd
    .uniform_work_group_size: 1
    .uses_dynamic_stack: false
    .vgpr_count:     202
    .vgpr_spill_count: 0
    .wavefront_size: 64
amdhsa.target:   amdgcn-amd-amdhsa--gfx906
amdhsa.version:
  - 1
  - 2
...

	.end_amdgpu_metadata
